;; amdgpu-corpus repo=ROCm/rocFFT kind=compiled arch=gfx1100 opt=O3
	.text
	.amdgcn_target "amdgcn-amd-amdhsa--gfx1100"
	.amdhsa_code_object_version 6
	.protected	bluestein_single_fwd_len476_dim1_dp_op_CI_CI ; -- Begin function bluestein_single_fwd_len476_dim1_dp_op_CI_CI
	.globl	bluestein_single_fwd_len476_dim1_dp_op_CI_CI
	.p2align	8
	.type	bluestein_single_fwd_len476_dim1_dp_op_CI_CI,@function
bluestein_single_fwd_len476_dim1_dp_op_CI_CI: ; @bluestein_single_fwd_len476_dim1_dp_op_CI_CI
; %bb.0:
	s_load_b128 s[4:7], s[0:1], 0x28
	v_mul_u32_u24_e32 v1, 0x788, v0
	s_mov_b32 s2, exec_lo
	s_delay_alu instid0(VALU_DEP_1) | instskip(NEXT) | instid1(VALU_DEP_1)
	v_lshrrev_b32_e32 v1, 16, v1
	v_mad_u64_u32 v[249:250], null, s15, 3, v[1:2]
	v_mov_b32_e32 v250, 0
                                        ; kill: def $vgpr2 killed $sgpr0 killed $exec
	s_waitcnt lgkmcnt(0)
	s_delay_alu instid0(VALU_DEP_1)
	v_cmpx_gt_u64_e64 s[4:5], v[249:250]
	s_cbranch_execz .LBB0_15
; %bb.1:
	v_mul_hi_u32 v2, 0xaaaaaaab, v249
	v_mul_lo_u16 v1, v1, 34
	s_clause 0x1
	s_load_b64 s[12:13], s[0:1], 0x0
	s_load_b64 s[14:15], s[0:1], 0x38
	s_delay_alu instid0(VALU_DEP_1) | instskip(NEXT) | instid1(VALU_DEP_3)
	v_sub_nc_u16 v0, v0, v1
	v_lshrrev_b32_e32 v2, 1, v2
	s_delay_alu instid0(VALU_DEP_2) | instskip(SKIP_1) | instid1(VALU_DEP_3)
	v_and_b32_e32 v246, 0xffff, v0
	v_cmp_gt_u16_e32 vcc_lo, 28, v0
	v_lshl_add_u32 v2, v2, 1, v2
	s_delay_alu instid0(VALU_DEP_3) | instskip(SKIP_1) | instid1(VALU_DEP_3)
	v_lshlrev_b32_e32 v245, 4, v246
	v_or_b32_e32 v242, 0xe0, v246
	v_sub_nc_u32_e32 v1, v249, v2
	v_or_b32_e32 v241, 0x1c0, v246
	s_delay_alu instid0(VALU_DEP_2) | instskip(NEXT) | instid1(VALU_DEP_1)
	v_mul_u32_u24_e32 v243, 0x1dc, v1
	v_lshlrev_b32_e32 v244, 4, v243
	s_and_saveexec_b32 s3, vcc_lo
	s_cbranch_execz .LBB0_3
; %bb.2:
	s_load_b64 s[4:5], s[0:1], 0x18
	s_waitcnt lgkmcnt(0)
	v_add_co_u32 v42, s2, s12, v245
	s_delay_alu instid0(VALU_DEP_1) | instskip(NEXT) | instid1(VALU_DEP_2)
	v_add_co_ci_u32_e64 v43, null, s13, 0, s2
	v_add_co_u32 v128, s2, 0x1000, v42
	s_delay_alu instid0(VALU_DEP_1)
	v_add_co_ci_u32_e64 v129, s2, 0, v43, s2
	s_load_b128 s[8:11], s[4:5], 0x0
	s_clause 0x9
	global_load_b128 v[0:3], v245, s[12:13]
	global_load_b128 v[4:7], v245, s[12:13] offset:448
	global_load_b128 v[8:11], v245, s[12:13] offset:896
	;; [unrolled: 1-line block ×9, first 2 shown]
	s_waitcnt lgkmcnt(0)
	v_mad_u64_u32 v[44:45], null, s10, v249, 0
	v_mad_u64_u32 v[46:47], null, s8, v246, 0
	s_mul_i32 s4, s9, 0x1c0
	s_mul_hi_u32 s5, s8, 0x1c0
	s_mul_i32 s10, s8, 0x1c0
	s_add_i32 s5, s5, s4
	s_delay_alu instid0(VALU_DEP_2) | instskip(NEXT) | instid1(VALU_DEP_2)
	v_dual_mov_b32 v40, v45 :: v_dual_lshlrev_b32 v45, 4, v241
	v_mov_b32_e32 v41, v47
	v_mad_u64_u32 v[52:53], null, s8, v241, 0
	s_delay_alu instid0(VALU_DEP_2)
	v_mad_u64_u32 v[47:48], null, s11, v249, v[40:41]
	v_mad_u64_u32 v[48:49], null, s9, v246, v[41:42]
	global_load_b128 v[40:43], v45, s[12:13]
	v_mov_b32_e32 v45, v47
	v_mov_b32_e32 v47, v48
	v_mad_u64_u32 v[48:49], null, s8, v242, 0
	s_delay_alu instid0(VALU_DEP_3) | instskip(NEXT) | instid1(VALU_DEP_3)
	v_lshlrev_b64 v[44:45], 4, v[44:45]
	v_lshlrev_b64 v[46:47], 4, v[46:47]
	s_delay_alu instid0(VALU_DEP_2) | instskip(NEXT) | instid1(VALU_DEP_1)
	v_add_co_u32 v56, s2, s6, v44
	v_add_co_ci_u32_e64 v57, s2, s7, v45, s2
	v_mov_b32_e32 v44, v49
	s_delay_alu instid0(VALU_DEP_3) | instskip(NEXT) | instid1(VALU_DEP_1)
	v_add_co_u32 v68, s2, v56, v46
	v_add_co_ci_u32_e64 v69, s2, v57, v47, s2
	v_mov_b32_e32 v45, v53
	s_delay_alu instid0(VALU_DEP_3) | instskip(NEXT) | instid1(VALU_DEP_1)
	v_add_co_u32 v72, s2, v68, s10
	v_add_co_ci_u32_e64 v73, s2, s5, v69, s2
	s_delay_alu instid0(VALU_DEP_3) | instskip(NEXT) | instid1(VALU_DEP_3)
	v_mad_u64_u32 v[46:47], null, s9, v242, v[44:45]
	v_add_co_u32 v76, s2, v72, s10
	s_delay_alu instid0(VALU_DEP_1) | instskip(NEXT) | instid1(VALU_DEP_2)
	v_add_co_ci_u32_e64 v77, s2, s5, v73, s2
	v_add_co_u32 v80, s2, v76, s10
	s_delay_alu instid0(VALU_DEP_1) | instskip(SKIP_1) | instid1(VALU_DEP_3)
	v_add_co_ci_u32_e64 v81, s2, s5, v77, s2
	v_mad_u64_u32 v[50:51], null, s9, v241, v[45:46]
	v_add_co_u32 v84, s2, v80, s10
	s_delay_alu instid0(VALU_DEP_1) | instskip(SKIP_1) | instid1(VALU_DEP_3)
	v_add_co_ci_u32_e64 v85, s2, s5, v81, s2
	v_mov_b32_e32 v49, v46
	v_add_co_u32 v88, s2, v84, s10
	s_delay_alu instid0(VALU_DEP_1) | instskip(SKIP_1) | instid1(VALU_DEP_3)
	v_add_co_ci_u32_e64 v89, s2, s5, v85, s2
	v_mov_b32_e32 v53, v50
	v_add_co_u32 v92, s2, v88, s10
	s_delay_alu instid0(VALU_DEP_1) | instskip(SKIP_1) | instid1(VALU_DEP_3)
	v_add_co_ci_u32_e64 v93, s2, s5, v89, s2
	v_lshlrev_b64 v[54:55], 4, v[48:49]
	v_add_co_u32 v96, s2, v92, s10
	s_delay_alu instid0(VALU_DEP_1) | instskip(SKIP_1) | instid1(VALU_DEP_4)
	v_add_co_ci_u32_e64 v97, s2, s5, v93, s2
	v_lshlrev_b64 v[52:53], 4, v[52:53]
	v_add_co_u32 v60, s2, v56, v54
	s_delay_alu instid0(VALU_DEP_3) | instskip(SKIP_1) | instid1(VALU_DEP_4)
	v_mad_u64_u32 v[100:101], null, 0x380, s8, v[96:97]
	v_add_co_ci_u32_e64 v61, s2, v57, v55, s2
	v_add_co_u32 v64, s2, v56, v52
	s_delay_alu instid0(VALU_DEP_1) | instskip(NEXT) | instid1(VALU_DEP_4)
	v_add_co_ci_u32_e64 v65, s2, v57, v53, s2
	v_mov_b32_e32 v66, v101
	v_add_co_u32 v104, s2, v100, s10
	s_clause 0x3
	global_load_b128 v[44:47], v[128:129], off offset:384
	global_load_b128 v[48:51], v[128:129], off offset:832
	;; [unrolled: 1-line block ×4, first 2 shown]
	global_load_b128 v[60:63], v[60:61], off
	v_mad_u64_u32 v[94:95], null, 0x380, s9, v[66:67]
	s_clause 0x5
	global_load_b128 v[64:67], v[64:65], off
	global_load_b128 v[68:71], v[68:69], off
	;; [unrolled: 1-line block ×8, first 2 shown]
	v_mov_b32_e32 v101, v94
	global_load_b128 v[92:95], v[92:93], off
	v_add_co_ci_u32_e64 v105, s2, s5, v101, s2
	v_add_co_u32 v108, s2, v104, s10
	global_load_b128 v[100:103], v[100:101], off
	v_add_co_ci_u32_e64 v109, s2, s5, v105, s2
	v_add_co_u32 v112, s2, v108, s10
	;; [unrolled: 3-line block ×5, first 2 shown]
	s_delay_alu instid0(VALU_DEP_1)
	v_add_co_ci_u32_e64 v133, s2, s5, v121, s2
	global_load_b128 v[116:119], v[116:117], off
	global_load_b128 v[120:123], v[120:121], off
	s_clause 0x1
	global_load_b128 v[124:127], v[128:129], off offset:2176
	global_load_b128 v[128:131], v[128:129], off offset:2624
	global_load_b128 v[132:135], v[132:133], off
	s_waitcnt vmcnt(17)
	v_mul_f64 v[140:141], v[66:67], v[42:43]
	s_waitcnt vmcnt(16)
	v_mul_f64 v[136:137], v[70:71], v[2:3]
	v_mul_f64 v[2:3], v[68:69], v[2:3]
	;; [unrolled: 1-line block ×4, first 2 shown]
	s_waitcnt vmcnt(15)
	v_mul_f64 v[142:143], v[74:75], v[6:7]
	v_mul_f64 v[144:145], v[72:73], v[6:7]
	s_waitcnt vmcnt(14)
	v_mul_f64 v[146:147], v[78:79], v[10:11]
	v_mul_f64 v[10:11], v[76:77], v[10:11]
	;; [unrolled: 3-line block ×6, first 2 shown]
	v_mul_f64 v[157:158], v[98:99], v[30:31]
	v_mul_f64 v[159:160], v[96:97], v[30:31]
	;; [unrolled: 1-line block ×3, first 2 shown]
	s_waitcnt vmcnt(8)
	v_mul_f64 v[161:162], v[102:103], v[38:39]
	v_mul_f64 v[38:39], v[100:101], v[38:39]
	s_waitcnt vmcnt(7)
	v_mul_f64 v[163:164], v[106:107], v[46:47]
	v_mul_f64 v[46:47], v[104:105], v[46:47]
	;; [unrolled: 3-line block ×4, first 2 shown]
	v_fma_f64 v[6:7], v[64:65], v[40:41], v[140:141]
	v_fma_f64 v[68:69], v[68:69], v[0:1], v[136:137]
	s_waitcnt vmcnt(4)
	v_mul_f64 v[169:170], v[118:119], v[58:59]
	v_mul_f64 v[171:172], v[116:117], v[58:59]
	s_waitcnt vmcnt(2)
	v_mul_f64 v[173:174], v[122:123], v[126:127]
	v_mul_f64 v[126:127], v[120:121], v[126:127]
	;; [unrolled: 3-line block ×3, first 2 shown]
	v_fma_f64 v[70:71], v[70:71], v[0:1], -v[2:3]
	v_fma_f64 v[0:1], v[60:61], v[32:33], v[138:139]
	v_fma_f64 v[2:3], v[62:63], v[32:33], -v[34:35]
	v_fma_f64 v[30:31], v[72:73], v[4:5], v[142:143]
	;; [unrolled: 2-line block ×10, first 2 shown]
	v_fma_f64 v[44:45], v[106:107], v[44:45], -v[46:47]
	v_fma_f64 v[8:9], v[66:67], v[40:41], -v[177:178]
	v_lshl_add_u32 v4, v246, 4, v244
	v_fma_f64 v[46:47], v[108:109], v[48:49], v[165:166]
	v_fma_f64 v[48:49], v[110:111], v[48:49], -v[50:51]
	v_add_nc_u32_e32 v5, v244, v245
	v_fma_f64 v[50:51], v[112:113], v[52:53], v[167:168]
	v_fma_f64 v[52:53], v[114:115], v[52:53], -v[54:55]
	v_fma_f64 v[54:55], v[116:117], v[56:57], v[169:170]
	v_fma_f64 v[56:57], v[118:119], v[56:57], -v[171:172]
	;; [unrolled: 2-line block ×4, first 2 shown]
	ds_store_b128 v4, v[68:71]
	ds_store_b128 v5, v[30:33] offset:448
	ds_store_b128 v5, v[58:61] offset:896
	;; [unrolled: 1-line block ×16, first 2 shown]
.LBB0_3:
	s_or_b32 exec_lo, exec_lo, s3
	s_clause 0x1
	s_load_b64 s[4:5], s[0:1], 0x20
	s_load_b64 s[2:3], s[0:1], 0x8
	s_waitcnt lgkmcnt(0)
	s_barrier
	buffer_gl0_inv
                                        ; implicit-def: $vgpr12_vgpr13
                                        ; implicit-def: $vgpr32_vgpr33
                                        ; implicit-def: $vgpr36_vgpr37
                                        ; implicit-def: $vgpr40_vgpr41
                                        ; implicit-def: $vgpr44_vgpr45
                                        ; implicit-def: $vgpr52_vgpr53
                                        ; implicit-def: $vgpr56_vgpr57
                                        ; implicit-def: $vgpr64_vgpr65
                                        ; implicit-def: $vgpr72_vgpr73
                                        ; implicit-def: $vgpr76_vgpr77
                                        ; implicit-def: $vgpr68_vgpr69
                                        ; implicit-def: $vgpr60_vgpr61
                                        ; implicit-def: $vgpr48_vgpr49
                                        ; implicit-def: $vgpr28_vgpr29
                                        ; implicit-def: $vgpr24_vgpr25
                                        ; implicit-def: $vgpr20_vgpr21
                                        ; implicit-def: $vgpr16_vgpr17
	s_and_saveexec_b32 s0, vcc_lo
	s_cbranch_execz .LBB0_5
; %bb.4:
	v_lshl_add_u32 v0, v243, 4, v245
	ds_load_b128 v[12:15], v0
	ds_load_b128 v[32:35], v0 offset:448
	ds_load_b128 v[36:39], v0 offset:896
	;; [unrolled: 1-line block ×16, first 2 shown]
.LBB0_5:
	s_or_b32 exec_lo, exec_lo, s0
	s_waitcnt lgkmcnt(0)
	v_add_f64 v[165:166], v[34:35], -v[18:19]
	s_mov_b32 s0, 0x5d8e7cdc
	s_mov_b32 s1, 0xbfd71e95
	v_add_f64 v[157:158], v[32:33], v[16:17]
	v_add_f64 v[94:95], v[38:39], -v[22:23]
	s_mov_b32 s6, 0x2a9d6da3
	s_mov_b32 s10, 0x370991
	;; [unrolled: 1-line block ×4, first 2 shown]
	v_add_f64 v[80:81], v[36:37], v[20:21]
	v_add_f64 v[175:176], v[32:33], -v[16:17]
	s_mov_b32 s8, 0x75d4884
	s_mov_b32 s9, 0x3fe7a5f6
	v_add_f64 v[171:172], v[34:35], v[18:19]
	v_add_f64 v[92:93], v[36:37], -v[20:21]
	v_add_f64 v[84:85], v[38:39], v[22:23]
	v_add_f64 v[110:111], v[42:43], -v[26:27]
	s_mov_b32 s18, 0x7c9e640b
	s_mov_b32 s19, 0xbfeca52d
	v_add_f64 v[88:89], v[40:41], v[24:25]
	v_add_f64 v[104:105], v[40:41], -v[24:25]
	s_mov_b32 s16, 0x2b2883cd
	s_mov_b32 s17, 0x3fdc86fa
	v_add_f64 v[96:97], v[42:43], v[26:27]
	v_add_f64 v[126:127], v[46:47], -v[30:31]
	s_mov_b32 s22, 0xeb564b22
	s_mov_b32 s23, 0xbfefdd0d
	v_add_f64 v[100:101], v[44:45], v[28:29]
	v_add_f64 v[116:117], v[44:45], -v[28:29]
	s_mov_b32 s20, 0x3259b75e
	s_mov_b32 s21, 0x3fb79ee6
	v_add_f64 v[112:113], v[46:47], v[30:31]
	v_add_f64 v[146:147], v[54:55], -v[50:51]
	s_mov_b32 s38, 0x923c349f
	s_mov_b32 s39, 0x3feec746
	s_mov_b32 s27, 0xbfeec746
	s_mov_b32 s26, s38
	v_add_f64 v[106:107], v[52:53], v[48:49]
	v_mul_f64 v[159:160], v[165:166], s[0:1]
	v_add_f64 v[136:137], v[52:53], -v[48:49]
	s_mov_b32 s24, 0xc61f0d01
	s_mov_b32 s25, 0xbfd183b1
	v_mul_f64 v[82:83], v[94:95], s[6:7]
	v_add_f64 v[122:123], v[54:55], v[50:51]
	v_add_f64 v[161:162], v[58:59], -v[62:63]
	s_mov_b32 s34, 0x6c9a05f6
	s_mov_b32 s35, 0xbfe9895b
	v_add_f64 v[118:119], v[56:57], v[60:61]
	v_mul_f64 v[173:174], v[175:176], s[0:1]
	v_add_f64 v[153:154], v[56:57], -v[60:61]
	s_mov_b32 s28, 0x6ed5f1bb
	s_mov_b32 s29, 0xbfe348c8
	v_mul_f64 v[86:87], v[92:93], s[6:7]
	v_add_f64 v[132:133], v[58:59], v[62:63]
	v_mul_f64 v[90:91], v[110:111], s[18:19]
	v_add_f64 v[167:168], v[66:67], -v[70:71]
	s_mov_b32 s40, 0x4363dd80
	s_mov_b32 s41, 0x3fe0d888
	v_mul_f64 v[98:99], v[104:105], s[18:19]
	s_mov_b32 s45, 0xbfe0d888
	s_mov_b32 s44, s40
	v_add_f64 v[128:129], v[64:65], v[68:69]
	v_mul_f64 v[102:103], v[126:127], s[22:23]
	v_add_f64 v[155:156], v[64:65], -v[68:69]
	s_mov_b32 s30, 0x910ea3b9
	s_mov_b32 s31, 0xbfeb34fa
	v_mul_f64 v[114:115], v[116:117], s[22:23]
	v_add_f64 v[142:143], v[66:67], v[70:71]
	v_add_f64 v[169:170], v[74:75], -v[78:79]
	s_mov_b32 s42, 0xacd6c6b4
	v_mul_f64 v[108:109], v[146:147], s[26:27]
	s_mov_b32 s43, 0x3fc7851a
	s_mov_b32 s49, 0xbfc7851a
	;; [unrolled: 1-line block ×3, first 2 shown]
	v_add_f64 v[138:139], v[72:73], v[76:77]
	v_add_f64 v[163:164], v[72:73], -v[76:77]
	v_fma_f64 v[0:1], v[157:158], s[10:11], v[159:160]
	v_mul_f64 v[124:125], v[136:137], s[26:27]
	s_mov_b32 s36, 0x7faef3
	s_mov_b32 s37, 0xbfef7484
	v_fma_f64 v[2:3], v[80:81], s[8:9], v[82:83]
	v_add_f64 v[149:150], v[74:75], v[78:79]
	v_mul_f64 v[120:121], v[161:162], s[34:35]
	v_mul_f64 v[233:234], v[165:166], s[6:7]
	;; [unrolled: 1-line block ×8, first 2 shown]
	v_fma_f64 v[4:5], v[84:85], s[8:9], -v[86:87]
	v_mul_f64 v[187:188], v[126:127], s[48:49]
	v_mul_f64 v[211:212], v[116:117], s[48:49]
	v_mul_f64 v[130:131], v[167:168], s[44:45]
	v_mul_f64 v[189:190], v[146:147], s[40:41]
	v_mul_f64 v[221:222], v[136:137], s[40:41]
	v_mul_f64 v[191:192], v[161:162], s[38:39]
	v_mul_f64 v[201:202], v[153:154], s[38:39]
	s_mov_b32 s47, 0x3feca52d
	s_mov_b32 s46, s18
	;; [unrolled: 1-line block ×3, first 2 shown]
	v_mul_f64 v[144:145], v[155:156], s[44:45]
	v_mul_f64 v[193:194], v[167:168], s[46:47]
	;; [unrolled: 1-line block ×3, first 2 shown]
	s_mov_b32 s50, s0
	v_mul_f64 v[237:238], v[165:166], s[18:19]
	v_mul_f64 v[140:141], v[169:170], s[48:49]
	;; [unrolled: 1-line block ×9, first 2 shown]
	v_add_f64 v[0:1], v[12:13], v[0:1]
	v_mul_f64 v[205:206], v[163:164], s[50:51]
	s_mov_b32 s53, 0x3fe58eea
	s_mov_b32 s52, s6
	v_mul_f64 v[217:218], v[161:162], s[0:1]
	v_mul_f64 v[225:226], v[146:147], s[52:53]
	;; [unrolled: 1-line block ×4, first 2 shown]
	v_fma_f64 v[6:7], v[80:81], s[20:21], v[177:178]
	v_mul_f64 v[213:214], v[167:168], s[22:23]
	v_fma_f64 v[8:9], v[84:85], s[20:21], -v[183:184]
	v_mul_f64 v[223:224], v[155:156], s[22:23]
	s_barrier
	buffer_gl0_inv
	v_fma_f64 v[10:11], v[80:81], s[28:29], v[179:180]
	v_fma_f64 v[185:186], v[84:85], s[28:29], -v[199:200]
	v_add_f64 v[0:1], v[2:3], v[0:1]
	v_fma_f64 v[2:3], v[171:172], s[10:11], -v[173:174]
	s_delay_alu instid0(VALU_DEP_1) | instskip(NEXT) | instid1(VALU_DEP_1)
	v_add_f64 v[2:3], v[14:15], v[2:3]
	v_add_f64 v[2:3], v[4:5], v[2:3]
	v_fma_f64 v[4:5], v[88:89], s[16:17], v[90:91]
	s_delay_alu instid0(VALU_DEP_1) | instskip(SKIP_1) | instid1(VALU_DEP_1)
	v_add_f64 v[0:1], v[4:5], v[0:1]
	v_fma_f64 v[4:5], v[96:97], s[16:17], -v[98:99]
	v_add_f64 v[2:3], v[4:5], v[2:3]
	v_fma_f64 v[4:5], v[100:101], s[20:21], v[102:103]
	s_delay_alu instid0(VALU_DEP_1) | instskip(SKIP_1) | instid1(VALU_DEP_1)
	v_add_f64 v[0:1], v[4:5], v[0:1]
	v_fma_f64 v[4:5], v[112:113], s[20:21], -v[114:115]
	;; [unrolled: 5-line block ×6, first 2 shown]
	v_add_f64 v[2:3], v[4:5], v[2:3]
	v_fma_f64 v[4:5], v[157:158], s[8:9], v[233:234]
	s_delay_alu instid0(VALU_DEP_1) | instskip(NEXT) | instid1(VALU_DEP_1)
	v_add_f64 v[4:5], v[12:13], v[4:5]
	v_add_f64 v[4:5], v[6:7], v[4:5]
	v_fma_f64 v[6:7], v[171:172], s[8:9], -v[235:236]
	s_delay_alu instid0(VALU_DEP_1) | instskip(NEXT) | instid1(VALU_DEP_1)
	v_add_f64 v[6:7], v[14:15], v[6:7]
	v_add_f64 v[6:7], v[8:9], v[6:7]
	v_fma_f64 v[8:9], v[88:89], s[28:29], v[181:182]
	s_delay_alu instid0(VALU_DEP_1) | instskip(SKIP_1) | instid1(VALU_DEP_1)
	v_add_f64 v[4:5], v[8:9], v[4:5]
	v_fma_f64 v[8:9], v[96:97], s[28:29], -v[197:198]
	v_add_f64 v[6:7], v[8:9], v[6:7]
	v_fma_f64 v[8:9], v[100:101], s[36:37], v[187:188]
	s_delay_alu instid0(VALU_DEP_1) | instskip(SKIP_1) | instid1(VALU_DEP_1)
	v_add_f64 v[4:5], v[8:9], v[4:5]
	v_fma_f64 v[8:9], v[112:113], s[36:37], -v[211:212]
	;; [unrolled: 5-line block ×6, first 2 shown]
	v_add_f64 v[6:7], v[8:9], v[6:7]
	v_fma_f64 v[8:9], v[157:158], s[16:17], v[237:238]
	s_delay_alu instid0(VALU_DEP_1) | instskip(NEXT) | instid1(VALU_DEP_1)
	v_add_f64 v[8:9], v[12:13], v[8:9]
	v_add_f64 v[8:9], v[10:11], v[8:9]
	v_fma_f64 v[10:11], v[171:172], s[16:17], -v[239:240]
	s_delay_alu instid0(VALU_DEP_1) | instskip(NEXT) | instid1(VALU_DEP_1)
	v_add_f64 v[10:11], v[14:15], v[10:11]
	v_add_f64 v[10:11], v[185:186], v[10:11]
	v_mul_f64 v[185:186], v[110:111], s[42:43]
	s_delay_alu instid0(VALU_DEP_1) | instskip(NEXT) | instid1(VALU_DEP_1)
	v_fma_f64 v[207:208], v[88:89], s[36:37], v[185:186]
	v_add_f64 v[8:9], v[207:208], v[8:9]
	v_fma_f64 v[207:208], v[96:97], s[36:37], -v[215:216]
	s_delay_alu instid0(VALU_DEP_1) | instskip(SKIP_1) | instid1(VALU_DEP_1)
	v_add_f64 v[10:11], v[207:208], v[10:11]
	v_mul_f64 v[207:208], v[126:127], s[38:39]
	v_fma_f64 v[209:210], v[100:101], s[24:25], v[207:208]
	s_delay_alu instid0(VALU_DEP_1) | instskip(SKIP_1) | instid1(VALU_DEP_1)
	v_add_f64 v[8:9], v[209:210], v[8:9]
	v_fma_f64 v[209:210], v[112:113], s[24:25], -v[227:228]
	v_add_f64 v[10:11], v[209:210], v[10:11]
	v_fma_f64 v[209:210], v[106:107], s[8:9], v[225:226]
	s_delay_alu instid0(VALU_DEP_1) | instskip(SKIP_1) | instid1(VALU_DEP_1)
	v_add_f64 v[8:9], v[209:210], v[8:9]
	v_fma_f64 v[209:210], v[122:123], s[8:9], -v[231:232]
	v_add_f64 v[10:11], v[209:210], v[10:11]
	;; [unrolled: 5-line block ×4, first 2 shown]
	v_mul_f64 v[209:210], v[169:170], s[44:45]
	s_delay_alu instid0(VALU_DEP_1) | instskip(NEXT) | instid1(VALU_DEP_1)
	v_fma_f64 v[219:220], v[138:139], s[30:31], v[209:210]
	v_add_f64 v[8:9], v[219:220], v[8:9]
	v_mul_f64 v[219:220], v[163:164], s[44:45]
	s_delay_alu instid0(VALU_DEP_1) | instskip(NEXT) | instid1(VALU_DEP_1)
	v_fma_f64 v[247:248], v[149:150], s[30:31], -v[219:220]
	v_add_f64 v[10:11], v[247:248], v[10:11]
	s_and_saveexec_b32 s33, vcc_lo
	s_cbranch_execz .LBB0_7
; %bb.6:
	v_add_f64 v[32:33], v[12:13], v[32:33]
	v_add_f64 v[34:35], v[14:15], v[34:35]
	s_mov_b32 s55, 0x3fe9895b
	s_mov_b32 s54, s34
	;; [unrolled: 1-line block ×4, first 2 shown]
	s_delay_alu instid0(VALU_DEP_2) | instskip(NEXT) | instid1(VALU_DEP_2)
	v_add_f64 v[32:33], v[32:33], v[36:37]
	v_add_f64 v[34:35], v[34:35], v[38:39]
	v_mul_f64 v[36:37], v[171:172], s[20:21]
	s_delay_alu instid0(VALU_DEP_3) | instskip(NEXT) | instid1(VALU_DEP_3)
	v_add_f64 v[32:33], v[32:33], v[40:41]
	v_add_f64 v[34:35], v[34:35], v[42:43]
	v_mul_f64 v[42:43], v[157:158], s[16:17]
	s_delay_alu instid0(VALU_DEP_4)
	v_fma_f64 v[38:39], v[175:176], s[56:57], v[36:37]
	v_mul_f64 v[40:41], v[171:172], s[16:17]
	v_fma_f64 v[36:37], v[175:176], s[22:23], v[36:37]
	v_add_f64 v[32:33], v[32:33], v[44:45]
	v_add_f64 v[34:35], v[34:35], v[46:47]
	v_mul_f64 v[46:47], v[157:158], s[8:9]
	v_add_f64 v[42:43], v[42:43], -v[237:238]
	v_mul_f64 v[44:45], v[171:172], s[8:9]
	v_add_f64 v[40:41], v[239:240], v[40:41]
	v_mul_f64 v[237:238], v[169:170], s[56:57]
	v_add_f64 v[32:33], v[32:33], v[52:53]
	v_add_f64 v[34:35], v[34:35], v[54:55]
	v_mul_f64 v[52:53], v[165:166], s[44:45]
	v_mul_f64 v[54:55], v[165:166], s[34:35]
	v_add_f64 v[46:47], v[46:47], -v[233:234]
	v_add_f64 v[44:45], v[235:236], v[44:45]
	v_mul_f64 v[235:236], v[149:150], s[20:21]
	v_add_f64 v[32:33], v[32:33], v[56:57]
	v_add_f64 v[34:35], v[34:35], v[58:59]
	v_mul_f64 v[56:57], v[165:166], s[26:27]
	v_mul_f64 v[58:59], v[165:166], s[22:23]
	s_delay_alu instid0(VALU_DEP_4) | instskip(NEXT) | instid1(VALU_DEP_4)
	v_add_f64 v[32:33], v[32:33], v[64:65]
	v_add_f64 v[34:35], v[34:35], v[66:67]
	v_fma_f64 v[64:65], v[157:158], s[28:29], v[54:55]
	v_fma_f64 v[54:55], v[157:158], s[28:29], -v[54:55]
	v_fma_f64 v[66:67], v[157:158], s[24:25], v[56:57]
	v_fma_f64 v[56:57], v[157:158], s[24:25], -v[56:57]
	v_add_f64 v[32:33], v[32:33], v[72:73]
	v_add_f64 v[34:35], v[34:35], v[74:75]
	;; [unrolled: 1-line block ×8, first 2 shown]
	s_delay_alu instid0(VALU_DEP_2) | instskip(NEXT) | instid1(VALU_DEP_2)
	v_add_f64 v[32:33], v[32:33], v[68:69]
	v_add_f64 v[34:35], v[34:35], v[70:71]
	v_mul_f64 v[70:71], v[157:158], s[10:11]
	v_fma_f64 v[68:69], v[157:158], s[20:21], v[58:59]
	v_fma_f64 v[58:59], v[157:158], s[20:21], -v[58:59]
	v_add_f64 v[32:33], v[32:33], v[60:61]
	v_add_f64 v[34:35], v[34:35], v[62:63]
	v_fma_f64 v[62:63], v[157:158], s[30:31], v[52:53]
	v_fma_f64 v[52:53], v[157:158], s[30:31], -v[52:53]
	v_add_f64 v[70:71], v[70:71], -v[159:160]
	v_add_f64 v[159:160], v[14:15], v[38:39]
	v_add_f64 v[68:69], v[12:13], v[68:69]
	;; [unrolled: 1-line block ×6, first 2 shown]
	v_mul_f64 v[50:51], v[165:166], s[48:49]
	v_mul_f64 v[48:49], v[171:172], s[10:11]
	v_add_f64 v[62:63], v[12:13], v[62:63]
	v_add_f64 v[52:53], v[12:13], v[52:53]
	;; [unrolled: 1-line block ×7, first 2 shown]
	v_mul_f64 v[32:33], v[171:172], s[24:25]
	v_fma_f64 v[60:61], v[157:158], s[36:37], v[50:51]
	v_fma_f64 v[50:51], v[157:158], s[36:37], -v[50:51]
	v_add_f64 v[48:49], v[173:174], v[48:49]
	v_add_f64 v[24:25], v[28:29], v[24:25]
	;; [unrolled: 1-line block ×3, first 2 shown]
	v_mul_f64 v[28:29], v[171:172], s[28:29]
	v_fma_f64 v[34:35], v[175:176], s[38:39], v[32:33]
	v_add_f64 v[60:61], v[12:13], v[60:61]
	v_add_f64 v[50:51], v[12:13], v[50:51]
	v_fma_f64 v[32:33], v[175:176], s[26:27], v[32:33]
	v_add_f64 v[20:21], v[24:25], v[20:21]
	v_mul_f64 v[24:25], v[171:172], s[30:31]
	v_add_f64 v[22:23], v[26:27], v[22:23]
	v_fma_f64 v[30:31], v[175:176], s[54:55], v[28:29]
	v_fma_f64 v[28:29], v[175:176], s[34:35], v[28:29]
	v_add_f64 v[78:79], v[14:15], v[34:35]
	v_add_f64 v[34:35], v[12:13], v[46:47]
	;; [unrolled: 1-line block ×5, first 2 shown]
	v_mul_f64 v[20:21], v[171:172], s[36:37]
	v_fma_f64 v[26:27], v[175:176], s[40:41], v[24:25]
	v_fma_f64 v[24:25], v[175:176], s[44:45], v[24:25]
	v_add_f64 v[18:19], v[22:23], v[18:19]
	v_add_f64 v[76:77], v[14:15], v[28:29]
	v_mul_f64 v[28:29], v[96:97], s[30:31]
	v_add_f64 v[74:75], v[14:15], v[30:31]
	v_add_f64 v[171:172], v[14:15], v[48:49]
	v_fma_f64 v[22:23], v[175:176], s[42:43], v[20:21]
	v_fma_f64 v[20:21], v[175:176], s[48:49], v[20:21]
	v_add_f64 v[72:73], v[14:15], v[24:25]
	v_mul_f64 v[24:25], v[84:85], s[10:11]
	v_add_f64 v[26:27], v[14:15], v[26:27]
	v_fma_f64 v[30:31], v[104:105], s[40:41], v[28:29]
	v_add_f64 v[22:23], v[14:15], v[22:23]
	v_add_f64 v[20:21], v[14:15], v[20:21]
	v_fma_f64 v[12:13], v[92:93], s[0:1], v[24:25]
	v_fma_f64 v[24:25], v[92:93], s[50:51], v[24:25]
	s_delay_alu instid0(VALU_DEP_2) | instskip(SKIP_1) | instid1(VALU_DEP_3)
	v_add_f64 v[12:13], v[12:13], v[22:23]
	v_mul_f64 v[22:23], v[94:95], s[50:51]
	v_add_f64 v[20:21], v[24:25], v[20:21]
	v_fma_f64 v[24:25], v[104:105], s[44:45], v[28:29]
	v_fma_f64 v[28:29], v[138:139], s[20:21], -v[237:238]
	v_add_f64 v[12:13], v[30:31], v[12:13]
	v_fma_f64 v[14:15], v[80:81], s[10:11], v[22:23]
	v_mul_f64 v[30:31], v[110:111], s[44:45]
	v_fma_f64 v[22:23], v[80:81], s[10:11], -v[22:23]
	v_add_f64 v[20:21], v[24:25], v[20:21]
	s_delay_alu instid0(VALU_DEP_4) | instskip(NEXT) | instid1(VALU_DEP_4)
	v_add_f64 v[14:15], v[14:15], v[60:61]
	v_fma_f64 v[40:41], v[88:89], s[30:31], v[30:31]
	s_delay_alu instid0(VALU_DEP_4) | instskip(SKIP_2) | instid1(VALU_DEP_4)
	v_add_f64 v[22:23], v[22:23], v[50:51]
	v_fma_f64 v[24:25], v[88:89], s[30:31], -v[30:31]
	v_mul_f64 v[30:31], v[94:95], s[46:47]
	v_add_f64 v[14:15], v[40:41], v[14:15]
	v_mul_f64 v[40:41], v[112:113], s[8:9]
	s_delay_alu instid0(VALU_DEP_4) | instskip(NEXT) | instid1(VALU_DEP_2)
	v_add_f64 v[22:23], v[24:25], v[22:23]
	v_fma_f64 v[42:43], v[116:117], s[6:7], v[40:41]
	v_fma_f64 v[24:25], v[116:117], s[52:53], v[40:41]
	v_mul_f64 v[40:41], v[96:97], s[20:21]
	s_delay_alu instid0(VALU_DEP_3) | instskip(SKIP_1) | instid1(VALU_DEP_4)
	v_add_f64 v[12:13], v[42:43], v[12:13]
	v_mul_f64 v[42:43], v[126:127], s[52:53]
	v_add_f64 v[20:21], v[24:25], v[20:21]
	s_delay_alu instid0(VALU_DEP_2) | instskip(SKIP_3) | instid1(VALU_DEP_4)
	v_fma_f64 v[44:45], v[100:101], s[8:9], v[42:43]
	v_fma_f64 v[24:25], v[100:101], s[8:9], -v[42:43]
	v_fma_f64 v[42:43], v[104:105], s[56:57], v[40:41]
	v_fma_f64 v[40:41], v[104:105], s[22:23], v[40:41]
	v_add_f64 v[14:15], v[44:45], v[14:15]
	v_mul_f64 v[44:45], v[122:123], s[28:29]
	v_add_f64 v[22:23], v[24:25], v[22:23]
	s_delay_alu instid0(VALU_DEP_2) | instskip(SKIP_1) | instid1(VALU_DEP_2)
	v_fma_f64 v[46:47], v[136:137], s[54:55], v[44:45]
	v_fma_f64 v[24:25], v[136:137], s[34:35], v[44:45]
	v_add_f64 v[12:13], v[46:47], v[12:13]
	v_mul_f64 v[46:47], v[146:147], s[34:35]
	s_delay_alu instid0(VALU_DEP_3) | instskip(NEXT) | instid1(VALU_DEP_2)
	v_add_f64 v[20:21], v[24:25], v[20:21]
	v_fma_f64 v[48:49], v[106:107], s[28:29], v[46:47]
	v_fma_f64 v[24:25], v[106:107], s[28:29], -v[46:47]
	s_delay_alu instid0(VALU_DEP_2) | instskip(SKIP_1) | instid1(VALU_DEP_3)
	v_add_f64 v[14:15], v[48:49], v[14:15]
	v_mul_f64 v[48:49], v[132:133], s[16:17]
	v_add_f64 v[22:23], v[24:25], v[22:23]
	s_delay_alu instid0(VALU_DEP_2) | instskip(SKIP_1) | instid1(VALU_DEP_2)
	v_fma_f64 v[60:61], v[153:154], s[18:19], v[48:49]
	v_fma_f64 v[24:25], v[153:154], s[46:47], v[48:49]
	v_add_f64 v[12:13], v[60:61], v[12:13]
	v_mul_f64 v[60:61], v[161:162], s[46:47]
	s_delay_alu instid0(VALU_DEP_3) | instskip(NEXT) | instid1(VALU_DEP_2)
	v_add_f64 v[20:21], v[24:25], v[20:21]
	v_fma_f64 v[173:174], v[118:119], s[16:17], v[60:61]
	v_fma_f64 v[24:25], v[118:119], s[16:17], -v[60:61]
	s_delay_alu instid0(VALU_DEP_2) | instskip(SKIP_1) | instid1(VALU_DEP_3)
	v_add_f64 v[14:15], v[173:174], v[14:15]
	v_mul_f64 v[173:174], v[142:143], s[24:25]
	v_add_f64 v[22:23], v[24:25], v[22:23]
	s_delay_alu instid0(VALU_DEP_2) | instskip(SKIP_1) | instid1(VALU_DEP_2)
	v_fma_f64 v[175:176], v[155:156], s[38:39], v[173:174]
	v_fma_f64 v[24:25], v[155:156], s[26:27], v[173:174]
	v_add_f64 v[12:13], v[175:176], v[12:13]
	v_mul_f64 v[175:176], v[167:168], s[26:27]
	s_delay_alu instid0(VALU_DEP_3) | instskip(NEXT) | instid1(VALU_DEP_2)
	v_add_f64 v[20:21], v[24:25], v[20:21]
	v_fma_f64 v[24:25], v[128:129], s[24:25], -v[175:176]
	v_fma_f64 v[233:234], v[128:129], s[24:25], v[175:176]
	s_delay_alu instid0(VALU_DEP_2) | instskip(SKIP_1) | instid1(VALU_DEP_3)
	v_add_f64 v[24:25], v[24:25], v[22:23]
	v_fma_f64 v[22:23], v[163:164], s[56:57], v[235:236]
	v_add_f64 v[233:234], v[233:234], v[14:15]
	v_fma_f64 v[14:15], v[163:164], s[22:23], v[235:236]
	v_mul_f64 v[235:236], v[149:150], s[24:25]
	s_delay_alu instid0(VALU_DEP_4)
	v_add_f64 v[22:23], v[22:23], v[20:21]
	v_add_f64 v[20:21], v[28:29], v[24:25]
	v_mul_f64 v[28:29], v[84:85], s[16:17]
	v_add_f64 v[14:15], v[14:15], v[12:13]
	v_fma_f64 v[12:13], v[138:139], s[20:21], v[237:238]
	v_mul_f64 v[237:238], v[169:170], s[26:27]
	s_delay_alu instid0(VALU_DEP_4) | instskip(SKIP_1) | instid1(VALU_DEP_4)
	v_fma_f64 v[24:25], v[92:93], s[18:19], v[28:29]
	v_fma_f64 v[28:29], v[92:93], s[46:47], v[28:29]
	v_add_f64 v[12:13], v[12:13], v[233:234]
	s_delay_alu instid0(VALU_DEP_3) | instskip(SKIP_1) | instid1(VALU_DEP_4)
	v_add_f64 v[24:25], v[24:25], v[26:27]
	v_fma_f64 v[26:27], v[80:81], s[16:17], v[30:31]
	v_add_f64 v[28:29], v[28:29], v[72:73]
	v_fma_f64 v[30:31], v[80:81], s[16:17], -v[30:31]
	v_mul_f64 v[72:73], v[96:97], s[24:25]
	v_add_f64 v[24:25], v[42:43], v[24:25]
	v_mul_f64 v[42:43], v[110:111], s[22:23]
	v_add_f64 v[26:27], v[26:27], v[62:63]
	v_add_f64 v[30:31], v[30:31], v[52:53]
	;; [unrolled: 1-line block ×3, first 2 shown]
	v_mul_f64 v[52:53], v[80:81], s[20:21]
	v_fma_f64 v[44:45], v[88:89], s[20:21], v[42:43]
	v_fma_f64 v[40:41], v[88:89], s[20:21], -v[42:43]
	v_fma_f64 v[42:43], v[138:139], s[24:25], -v[237:238]
	s_delay_alu instid0(VALU_DEP_4)
	v_add_f64 v[52:53], v[52:53], -v[177:178]
	v_mul_f64 v[177:178], v[122:123], s[16:17]
	v_add_f64 v[26:27], v[44:45], v[26:27]
	v_mul_f64 v[44:45], v[112:113], s[28:29]
	v_add_f64 v[30:31], v[40:41], v[30:31]
	v_add_f64 v[34:35], v[52:53], v[34:35]
	v_mul_f64 v[52:53], v[88:89], s[36:37]
	s_delay_alu instid0(VALU_DEP_4) | instskip(SKIP_2) | instid1(VALU_DEP_4)
	v_fma_f64 v[46:47], v[116:117], s[34:35], v[44:45]
	v_fma_f64 v[40:41], v[116:117], s[54:55], v[44:45]
	v_mul_f64 v[44:45], v[96:97], s[28:29]
	v_add_f64 v[52:53], v[52:53], -v[185:186]
	v_mul_f64 v[185:186], v[142:143], s[28:29]
	v_add_f64 v[24:25], v[46:47], v[24:25]
	v_mul_f64 v[46:47], v[126:127], s[54:55]
	v_add_f64 v[28:29], v[40:41], v[28:29]
	v_add_f64 v[44:45], v[197:198], v[44:45]
	v_mul_f64 v[197:198], v[126:127], s[18:19]
	s_delay_alu instid0(VALU_DEP_4) | instskip(SKIP_2) | instid1(VALU_DEP_3)
	v_fma_f64 v[48:49], v[100:101], s[28:29], v[46:47]
	v_fma_f64 v[40:41], v[100:101], s[28:29], -v[46:47]
	v_mul_f64 v[46:47], v[84:85], s[20:21]
	v_add_f64 v[26:27], v[48:49], v[26:27]
	v_mul_f64 v[48:49], v[122:123], s[10:11]
	s_delay_alu instid0(VALU_DEP_4) | instskip(NEXT) | instid1(VALU_DEP_4)
	v_add_f64 v[30:31], v[40:41], v[30:31]
	v_add_f64 v[46:47], v[183:184], v[46:47]
	v_mul_f64 v[183:184], v[161:162], s[44:45]
	s_delay_alu instid0(VALU_DEP_4)
	v_fma_f64 v[50:51], v[136:137], s[50:51], v[48:49]
	v_fma_f64 v[40:41], v[136:137], s[0:1], v[48:49]
	v_mul_f64 v[48:49], v[100:101], s[36:37]
	v_add_f64 v[32:33], v[46:47], v[32:33]
	v_mul_f64 v[46:47], v[118:119], s[24:25]
	v_add_f64 v[24:25], v[50:51], v[24:25]
	;; [unrolled: 2-line block ×3, first 2 shown]
	v_add_f64 v[48:49], v[48:49], -v[187:188]
	v_add_f64 v[32:33], v[44:45], v[32:33]
	v_add_f64 v[46:47], v[46:47], -v[191:192]
	v_mul_f64 v[44:45], v[142:143], s[16:17]
	v_mul_f64 v[187:188], v[167:168], s[54:55]
	;; [unrolled: 1-line block ×3, first 2 shown]
	v_fma_f64 v[60:61], v[106:107], s[10:11], v[50:51]
	v_fma_f64 v[40:41], v[106:107], s[10:11], -v[50:51]
	v_mul_f64 v[50:51], v[88:89], s[28:29]
	v_add_f64 v[44:45], v[203:204], v[44:45]
	v_mul_f64 v[203:204], v[132:133], s[20:21]
	v_add_f64 v[26:27], v[60:61], v[26:27]
	;; [unrolled: 2-line block ×3, first 2 shown]
	v_add_f64 v[50:51], v[50:51], -v[181:182]
	v_mul_f64 v[181:182], v[132:133], s[30:31]
	s_delay_alu instid0(VALU_DEP_4)
	v_fma_f64 v[62:63], v[153:154], s[42:43], v[60:61]
	v_fma_f64 v[40:41], v[153:154], s[48:49], v[60:61]
	v_mul_f64 v[60:61], v[106:107], s[30:31]
	v_add_f64 v[34:35], v[50:51], v[34:35]
	v_mul_f64 v[50:51], v[100:101], s[24:25]
	v_add_f64 v[24:25], v[62:63], v[24:25]
	v_mul_f64 v[62:63], v[161:162], s[48:49]
	v_add_f64 v[28:29], v[40:41], v[28:29]
	v_add_f64 v[60:61], v[60:61], -v[189:190]
	v_add_f64 v[34:35], v[48:49], v[34:35]
	v_mul_f64 v[48:49], v[106:107], s[8:9]
	v_add_f64 v[50:51], v[50:51], -v[207:208]
	v_mul_f64 v[189:190], v[149:150], s[8:9]
	v_mul_f64 v[207:208], v[142:143], s[10:11]
	v_fma_f64 v[173:174], v[118:119], s[36:37], v[62:63]
	v_fma_f64 v[40:41], v[118:119], s[36:37], -v[62:63]
	v_mul_f64 v[62:63], v[132:133], s[24:25]
	v_add_f64 v[34:35], v[60:61], v[34:35]
	v_mul_f64 v[60:61], v[80:81], s[28:29]
	v_add_f64 v[48:49], v[48:49], -v[225:226]
	v_add_f64 v[26:27], v[173:174], v[26:27]
	v_mul_f64 v[173:174], v[142:143], s[8:9]
	v_add_f64 v[30:31], v[40:41], v[30:31]
	v_add_f64 v[62:63], v[201:202], v[62:63]
	;; [unrolled: 1-line block ×3, first 2 shown]
	v_mul_f64 v[46:47], v[138:139], s[10:11]
	v_add_f64 v[60:61], v[60:61], -v[179:180]
	v_mul_f64 v[179:180], v[146:147], s[18:19]
	v_mul_f64 v[201:202], v[146:147], s[48:49]
	;; [unrolled: 1-line block ×3, first 2 shown]
	v_fma_f64 v[175:176], v[155:156], s[6:7], v[173:174]
	v_fma_f64 v[40:41], v[155:156], s[52:53], v[173:174]
	v_mul_f64 v[173:174], v[112:113], s[10:11]
	v_add_f64 v[46:47], v[46:47], -v[195:196]
	v_add_f64 v[38:39], v[60:61], v[38:39]
	v_mul_f64 v[60:61], v[84:85], s[36:37]
	v_mul_f64 v[195:196], v[112:113], s[16:17]
	v_add_f64 v[24:25], v[175:176], v[24:25]
	v_mul_f64 v[175:176], v[167:168], s[52:53]
	v_add_f64 v[28:29], v[40:41], v[28:29]
	v_add_f64 v[38:39], v[52:53], v[38:39]
	v_mul_f64 v[52:53], v[84:85], s[24:25]
	s_delay_alu instid0(VALU_DEP_4)
	v_fma_f64 v[40:41], v[128:129], s[8:9], -v[175:176]
	v_fma_f64 v[233:234], v[128:129], s[8:9], v[175:176]
	v_mul_f64 v[175:176], v[126:127], s[50:51]
	v_mul_f64 v[126:127], v[126:127], s[44:45]
	v_add_f64 v[38:39], v[50:51], v[38:39]
	v_add_f64 v[40:41], v[40:41], v[30:31]
	v_fma_f64 v[30:31], v[163:164], s[26:27], v[235:236]
	v_add_f64 v[233:234], v[233:234], v[26:27]
	v_fma_f64 v[26:27], v[163:164], s[38:39], v[235:236]
	v_add_f64 v[38:39], v[48:49], v[38:39]
	s_delay_alu instid0(VALU_DEP_4)
	v_add_f64 v[30:31], v[30:31], v[28:29]
	v_add_f64 v[28:29], v[42:43], v[40:41]
	v_mul_f64 v[42:43], v[112:113], s[36:37]
	v_mul_f64 v[40:41], v[122:123], s[30:31]
	v_add_f64 v[26:27], v[26:27], v[24:25]
	v_fma_f64 v[24:25], v[138:139], s[24:25], v[237:238]
	s_delay_alu instid0(VALU_DEP_4) | instskip(NEXT) | instid1(VALU_DEP_4)
	v_add_f64 v[42:43], v[211:212], v[42:43]
	v_add_f64 v[40:41], v[221:222], v[40:41]
	v_mul_f64 v[211:212], v[149:150], s[28:29]
	s_delay_alu instid0(VALU_DEP_4) | instskip(NEXT) | instid1(VALU_DEP_4)
	v_add_f64 v[24:25], v[24:25], v[233:234]
	v_add_f64 v[32:33], v[42:43], v[32:33]
	v_mul_f64 v[42:43], v[128:129], s[16:17]
	s_delay_alu instid0(VALU_DEP_2) | instskip(NEXT) | instid1(VALU_DEP_2)
	v_add_f64 v[32:33], v[40:41], v[32:33]
	v_add_f64 v[42:43], v[42:43], -v[193:194]
	v_mul_f64 v[40:41], v[149:150], s[10:11]
	v_mul_f64 v[193:194], v[110:111], s[52:53]
	s_delay_alu instid0(VALU_DEP_4) | instskip(NEXT) | instid1(VALU_DEP_4)
	v_add_f64 v[32:33], v[62:63], v[32:33]
	v_add_f64 v[42:43], v[42:43], v[34:35]
	s_delay_alu instid0(VALU_DEP_4)
	v_add_f64 v[40:41], v[205:206], v[40:41]
	v_mul_f64 v[62:63], v[132:133], s[10:11]
	v_mul_f64 v[205:206], v[161:162], s[56:57]
	;; [unrolled: 1-line block ×3, first 2 shown]
	v_add_f64 v[32:33], v[44:45], v[32:33]
	v_mul_f64 v[44:45], v[96:97], s[36:37]
	v_add_f64 v[62:63], v[229:230], v[62:63]
	s_delay_alu instid0(VALU_DEP_3)
	v_add_f64 v[34:35], v[40:41], v[32:33]
	v_add_f64 v[32:33], v[46:47], v[42:43]
	v_mul_f64 v[46:47], v[84:85], s[28:29]
	v_mul_f64 v[42:43], v[112:113], s[24:25]
	v_add_f64 v[44:45], v[215:216], v[44:45]
	v_mul_f64 v[40:41], v[122:123], s[8:9]
	s_delay_alu instid0(VALU_DEP_4) | instskip(NEXT) | instid1(VALU_DEP_4)
	v_add_f64 v[46:47], v[199:200], v[46:47]
	v_add_f64 v[42:43], v[227:228], v[42:43]
	v_mul_f64 v[199:200], v[122:123], s[36:37]
	s_delay_alu instid0(VALU_DEP_4) | instskip(NEXT) | instid1(VALU_DEP_4)
	v_add_f64 v[40:41], v[231:232], v[40:41]
	v_add_f64 v[36:37], v[46:47], v[36:37]
	v_mul_f64 v[46:47], v[118:119], s[10:11]
	s_delay_alu instid0(VALU_DEP_2) | instskip(SKIP_1) | instid1(VALU_DEP_3)
	v_add_f64 v[36:37], v[44:45], v[36:37]
	v_mul_f64 v[44:45], v[142:143], s[20:21]
	v_add_f64 v[46:47], v[46:47], -v[217:218]
	s_delay_alu instid0(VALU_DEP_3) | instskip(NEXT) | instid1(VALU_DEP_3)
	v_add_f64 v[36:37], v[42:43], v[36:37]
	v_add_f64 v[44:45], v[223:224], v[44:45]
	v_mul_f64 v[42:43], v[128:129], s[20:21]
	s_delay_alu instid0(VALU_DEP_4)
	v_add_f64 v[38:39], v[46:47], v[38:39]
	v_mul_f64 v[46:47], v[138:139], s[30:31]
	v_mul_f64 v[223:224], v[149:150], s[16:17]
	v_add_f64 v[36:37], v[40:41], v[36:37]
	v_mul_f64 v[40:41], v[149:150], s[30:31]
	v_add_f64 v[42:43], v[42:43], -v[213:214]
	v_mul_f64 v[213:214], v[169:170], s[34:35]
	v_add_f64 v[46:47], v[46:47], -v[209:210]
	v_mul_f64 v[209:210], v[167:168], s[0:1]
	v_mul_f64 v[167:168], v[167:168], s[48:49]
	v_mul_f64 v[169:170], v[169:170], s[46:47]
	v_add_f64 v[36:37], v[62:63], v[36:37]
	v_add_f64 v[40:41], v[219:220], v[40:41]
	;; [unrolled: 1-line block ×3, first 2 shown]
	v_mul_f64 v[62:63], v[94:95], s[48:49]
	s_delay_alu instid0(VALU_DEP_4) | instskip(SKIP_2) | instid1(VALU_DEP_3)
	v_add_f64 v[36:37], v[44:45], v[36:37]
	v_fma_f64 v[44:45], v[104:105], s[38:39], v[72:73]
	v_fma_f64 v[72:73], v[104:105], s[26:27], v[72:73]
	v_add_f64 v[38:39], v[40:41], v[36:37]
	v_fma_f64 v[40:41], v[92:93], s[48:49], v[60:61]
	v_add_f64 v[36:37], v[46:47], v[42:43]
	v_fma_f64 v[42:43], v[80:81], s[36:37], -v[62:63]
	v_fma_f64 v[60:61], v[92:93], s[42:43], v[60:61]
	v_fma_f64 v[62:63], v[80:81], s[36:37], v[62:63]
	v_add_f64 v[40:41], v[40:41], v[165:166]
	v_mul_f64 v[165:166], v[110:111], s[38:39]
	v_add_f64 v[42:43], v[42:43], v[58:59]
	v_mul_f64 v[58:59], v[84:85], s[30:31]
	v_add_f64 v[60:61], v[60:61], v[159:160]
	v_add_f64 v[62:63], v[62:63], v[68:69]
	;; [unrolled: 1-line block ×3, first 2 shown]
	v_fma_f64 v[44:45], v[88:89], s[24:25], -v[165:166]
	v_fma_f64 v[68:69], v[88:89], s[24:25], v[165:166]
	v_add_f64 v[60:61], v[72:73], v[60:61]
	v_mul_f64 v[72:73], v[100:101], s[20:21]
	s_delay_alu instid0(VALU_DEP_4) | instskip(SKIP_4) | instid1(VALU_DEP_4)
	v_add_f64 v[42:43], v[44:45], v[42:43]
	v_fma_f64 v[44:45], v[116:117], s[50:51], v[173:174]
	v_add_f64 v[62:63], v[68:69], v[62:63]
	v_mul_f64 v[68:69], v[84:85], s[8:9]
	v_add_f64 v[72:73], v[72:73], -v[102:103]
	v_add_f64 v[40:41], v[44:45], v[40:41]
	v_fma_f64 v[44:45], v[100:101], s[10:11], -v[175:176]
	s_delay_alu instid0(VALU_DEP_4) | instskip(NEXT) | instid1(VALU_DEP_2)
	v_add_f64 v[68:69], v[86:87], v[68:69]
	v_add_f64 v[42:43], v[44:45], v[42:43]
	v_fma_f64 v[44:45], v[136:137], s[18:19], v[177:178]
	s_delay_alu instid0(VALU_DEP_3) | instskip(NEXT) | instid1(VALU_DEP_2)
	v_add_f64 v[68:69], v[68:69], v[171:172]
	v_add_f64 v[40:41], v[44:45], v[40:41]
	v_fma_f64 v[44:45], v[106:107], s[16:17], -v[179:180]
	s_delay_alu instid0(VALU_DEP_1) | instskip(SKIP_1) | instid1(VALU_DEP_1)
	v_add_f64 v[42:43], v[44:45], v[42:43]
	v_fma_f64 v[44:45], v[153:154], s[44:45], v[181:182]
	v_add_f64 v[40:41], v[44:45], v[40:41]
	v_fma_f64 v[44:45], v[118:119], s[30:31], -v[183:184]
	s_delay_alu instid0(VALU_DEP_1) | instskip(SKIP_1) | instid1(VALU_DEP_1)
	v_add_f64 v[42:43], v[44:45], v[42:43]
	v_fma_f64 v[44:45], v[155:156], s[54:55], v[185:186]
	;; [unrolled: 5-line block ×3, first 2 shown]
	v_add_f64 v[42:43], v[42:43], v[40:41]
	v_fma_f64 v[40:41], v[138:139], s[8:9], -v[191:192]
	s_delay_alu instid0(VALU_DEP_1) | instskip(SKIP_2) | instid1(VALU_DEP_2)
	v_add_f64 v[40:41], v[40:41], v[44:45]
	v_fma_f64 v[44:45], v[92:93], s[40:41], v[58:59]
	v_fma_f64 v[58:59], v[92:93], s[44:45], v[58:59]
	v_add_f64 v[44:45], v[44:45], v[157:158]
	v_mul_f64 v[157:158], v[94:95], s[40:41]
	s_delay_alu instid0(VALU_DEP_3) | instskip(SKIP_1) | instid1(VALU_DEP_3)
	v_add_f64 v[58:59], v[58:59], v[78:79]
	v_fma_f64 v[78:79], v[163:164], s[6:7], v[189:190]
	v_fma_f64 v[46:47], v[80:81], s[30:31], -v[157:158]
	s_delay_alu instid0(VALU_DEP_1) | instskip(SKIP_1) | instid1(VALU_DEP_1)
	v_add_f64 v[46:47], v[46:47], v[56:57]
	v_mul_f64 v[56:57], v[96:97], s[8:9]
	v_fma_f64 v[48:49], v[104:105], s[52:53], v[56:57]
	v_fma_f64 v[56:57], v[104:105], s[6:7], v[56:57]
	s_delay_alu instid0(VALU_DEP_2) | instskip(SKIP_1) | instid1(VALU_DEP_3)
	v_add_f64 v[44:45], v[48:49], v[44:45]
	v_fma_f64 v[48:49], v[88:89], s[8:9], -v[193:194]
	v_add_f64 v[56:57], v[56:57], v[58:59]
	v_fma_f64 v[58:59], v[88:89], s[8:9], v[193:194]
	s_delay_alu instid0(VALU_DEP_3) | instskip(SKIP_1) | instid1(VALU_DEP_1)
	v_add_f64 v[46:47], v[48:49], v[46:47]
	v_fma_f64 v[48:49], v[116:117], s[18:19], v[195:196]
	v_add_f64 v[44:45], v[48:49], v[44:45]
	v_fma_f64 v[48:49], v[100:101], s[16:17], -v[197:198]
	s_delay_alu instid0(VALU_DEP_1) | instskip(SKIP_1) | instid1(VALU_DEP_1)
	v_add_f64 v[46:47], v[48:49], v[46:47]
	v_fma_f64 v[48:49], v[136:137], s[48:49], v[199:200]
	v_add_f64 v[44:45], v[48:49], v[44:45]
	v_fma_f64 v[48:49], v[106:107], s[36:37], -v[201:202]
	s_delay_alu instid0(VALU_DEP_1) | instskip(SKIP_1) | instid1(VALU_DEP_1)
	;; [unrolled: 5-line block ×4, first 2 shown]
	v_add_f64 v[48:49], v[48:49], v[46:47]
	v_fma_f64 v[46:47], v[163:164], s[34:35], v[211:212]
	v_add_f64 v[46:47], v[46:47], v[44:45]
	v_fma_f64 v[44:45], v[138:139], s[28:29], -v[213:214]
	s_delay_alu instid0(VALU_DEP_1) | instskip(SKIP_2) | instid1(VALU_DEP_2)
	v_add_f64 v[44:45], v[44:45], v[48:49]
	v_fma_f64 v[48:49], v[92:93], s[38:39], v[52:53]
	v_fma_f64 v[52:53], v[92:93], s[26:27], v[52:53]
	v_add_f64 v[48:49], v[48:49], v[76:77]
	v_mul_f64 v[76:77], v[94:95], s[38:39]
	s_delay_alu instid0(VALU_DEP_3) | instskip(NEXT) | instid1(VALU_DEP_2)
	v_add_f64 v[52:53], v[52:53], v[74:75]
	v_fma_f64 v[50:51], v[80:81], s[24:25], -v[76:77]
	v_fma_f64 v[74:75], v[80:81], s[24:25], v[76:77]
	v_fma_f64 v[76:77], v[155:156], s[34:35], v[185:186]
	s_delay_alu instid0(VALU_DEP_3) | instskip(SKIP_1) | instid1(VALU_DEP_4)
	v_add_f64 v[50:51], v[50:51], v[54:55]
	v_mul_f64 v[54:55], v[96:97], s[10:11]
	v_add_f64 v[64:65], v[74:75], v[64:65]
	v_fma_f64 v[74:75], v[138:139], s[16:17], v[169:170]
	s_delay_alu instid0(VALU_DEP_3) | instskip(SKIP_1) | instid1(VALU_DEP_2)
	v_fma_f64 v[94:95], v[104:105], s[0:1], v[54:55]
	v_fma_f64 v[54:55], v[104:105], s[50:51], v[54:55]
	v_add_f64 v[48:49], v[94:95], v[48:49]
	v_mul_f64 v[94:95], v[110:111], s[0:1]
	s_delay_alu instid0(VALU_DEP_3) | instskip(NEXT) | instid1(VALU_DEP_2)
	v_add_f64 v[52:53], v[54:55], v[52:53]
	v_fma_f64 v[110:111], v[88:89], s[10:11], -v[94:95]
	v_fma_f64 v[54:55], v[88:89], s[10:11], v[94:95]
	s_delay_alu instid0(VALU_DEP_2) | instskip(SKIP_1) | instid1(VALU_DEP_3)
	v_add_f64 v[50:51], v[110:111], v[50:51]
	v_mul_f64 v[110:111], v[112:113], s[30:31]
	v_add_f64 v[54:55], v[54:55], v[64:65]
	s_delay_alu instid0(VALU_DEP_2) | instskip(SKIP_1) | instid1(VALU_DEP_2)
	v_fma_f64 v[215:216], v[116:117], s[44:45], v[110:111]
	v_fma_f64 v[64:65], v[116:117], s[40:41], v[110:111]
	v_add_f64 v[48:49], v[215:216], v[48:49]
	v_fma_f64 v[215:216], v[100:101], s[30:31], -v[126:127]
	s_delay_alu instid0(VALU_DEP_3) | instskip(SKIP_1) | instid1(VALU_DEP_3)
	v_add_f64 v[52:53], v[64:65], v[52:53]
	v_fma_f64 v[64:65], v[100:101], s[30:31], v[126:127]
	v_add_f64 v[50:51], v[215:216], v[50:51]
	v_mul_f64 v[215:216], v[122:123], s[20:21]
	s_delay_alu instid0(VALU_DEP_3) | instskip(NEXT) | instid1(VALU_DEP_2)
	v_add_f64 v[54:55], v[64:65], v[54:55]
	v_fma_f64 v[217:218], v[136:137], s[56:57], v[215:216]
	v_fma_f64 v[64:65], v[136:137], s[22:23], v[215:216]
	s_delay_alu instid0(VALU_DEP_2) | instskip(SKIP_1) | instid1(VALU_DEP_3)
	v_add_f64 v[48:49], v[217:218], v[48:49]
	v_fma_f64 v[217:218], v[106:107], s[20:21], -v[146:147]
	v_add_f64 v[52:53], v[64:65], v[52:53]
	v_fma_f64 v[64:65], v[106:107], s[20:21], v[146:147]
	s_delay_alu instid0(VALU_DEP_3) | instskip(SKIP_1) | instid1(VALU_DEP_3)
	v_add_f64 v[50:51], v[217:218], v[50:51]
	v_mul_f64 v[217:218], v[132:133], s[8:9]
	v_add_f64 v[54:55], v[64:65], v[54:55]
	s_delay_alu instid0(VALU_DEP_2) | instskip(SKIP_1) | instid1(VALU_DEP_2)
	v_fma_f64 v[219:220], v[153:154], s[6:7], v[217:218]
	v_fma_f64 v[64:65], v[153:154], s[52:53], v[217:218]
	v_add_f64 v[48:49], v[219:220], v[48:49]
	v_fma_f64 v[219:220], v[118:119], s[8:9], -v[161:162]
	s_delay_alu instid0(VALU_DEP_3) | instskip(SKIP_1) | instid1(VALU_DEP_3)
	v_add_f64 v[52:53], v[64:65], v[52:53]
	v_fma_f64 v[64:65], v[118:119], s[8:9], v[161:162]
	v_add_f64 v[50:51], v[219:220], v[50:51]
	v_mul_f64 v[219:220], v[142:143], s[36:37]
	s_delay_alu instid0(VALU_DEP_3) | instskip(NEXT) | instid1(VALU_DEP_2)
	v_add_f64 v[54:55], v[64:65], v[54:55]
	v_fma_f64 v[64:65], v[155:156], s[42:43], v[219:220]
	v_fma_f64 v[221:222], v[155:156], s[48:49], v[219:220]
	s_delay_alu instid0(VALU_DEP_2) | instskip(SKIP_1) | instid1(VALU_DEP_3)
	v_add_f64 v[52:53], v[64:65], v[52:53]
	v_fma_f64 v[64:65], v[128:129], s[36:37], v[167:168]
	v_add_f64 v[48:49], v[221:222], v[48:49]
	v_fma_f64 v[221:222], v[128:129], s[36:37], -v[167:168]
	s_delay_alu instid0(VALU_DEP_3) | instskip(SKIP_1) | instid1(VALU_DEP_3)
	v_add_f64 v[64:65], v[64:65], v[54:55]
	v_fma_f64 v[54:55], v[163:164], s[18:19], v[223:224]
	v_add_f64 v[221:222], v[221:222], v[50:51]
	v_fma_f64 v[50:51], v[163:164], s[46:47], v[223:224]
	s_delay_alu instid0(VALU_DEP_3)
	v_add_f64 v[54:55], v[54:55], v[52:53]
	v_add_f64 v[52:53], v[74:75], v[64:65]
	v_fma_f64 v[64:65], v[80:81], s[30:31], v[157:158]
	v_fma_f64 v[74:75], v[153:154], s[40:41], v[181:182]
	v_add_f64 v[50:51], v[50:51], v[48:49]
	v_fma_f64 v[48:49], v[138:139], s[16:17], -v[169:170]
	s_delay_alu instid0(VALU_DEP_4) | instskip(SKIP_1) | instid1(VALU_DEP_3)
	v_add_f64 v[64:65], v[64:65], v[66:67]
	v_fma_f64 v[66:67], v[138:139], s[28:29], v[213:214]
	v_add_f64 v[48:49], v[48:49], v[221:222]
	s_delay_alu instid0(VALU_DEP_3) | instskip(SKIP_1) | instid1(VALU_DEP_1)
	v_add_f64 v[58:59], v[58:59], v[64:65]
	v_fma_f64 v[64:65], v[116:117], s[46:47], v[195:196]
	v_add_f64 v[56:57], v[64:65], v[56:57]
	v_fma_f64 v[64:65], v[100:101], s[16:17], v[197:198]
	s_delay_alu instid0(VALU_DEP_1) | instskip(SKIP_1) | instid1(VALU_DEP_1)
	v_add_f64 v[58:59], v[64:65], v[58:59]
	v_fma_f64 v[64:65], v[136:137], s[42:43], v[199:200]
	v_add_f64 v[56:57], v[64:65], v[56:57]
	v_fma_f64 v[64:65], v[106:107], s[36:37], v[201:202]
	s_delay_alu instid0(VALU_DEP_1) | instskip(SKIP_1) | instid1(VALU_DEP_1)
	;; [unrolled: 5-line block ×4, first 2 shown]
	v_add_f64 v[64:65], v[64:65], v[58:59]
	v_fma_f64 v[58:59], v[163:164], s[54:55], v[211:212]
	v_add_f64 v[58:59], v[58:59], v[56:57]
	s_delay_alu instid0(VALU_DEP_3) | instskip(SKIP_2) | instid1(VALU_DEP_2)
	v_add_f64 v[56:57], v[66:67], v[64:65]
	v_fma_f64 v[66:67], v[116:117], s[0:1], v[173:174]
	v_fma_f64 v[64:65], v[136:137], s[46:47], v[177:178]
	v_add_f64 v[60:61], v[66:67], v[60:61]
	v_fma_f64 v[66:67], v[100:101], s[10:11], v[175:176]
	s_delay_alu instid0(VALU_DEP_2) | instskip(NEXT) | instid1(VALU_DEP_2)
	v_add_f64 v[60:61], v[64:65], v[60:61]
	v_add_f64 v[62:63], v[66:67], v[62:63]
	v_fma_f64 v[64:65], v[106:107], s[16:17], v[179:180]
	v_fma_f64 v[66:67], v[138:139], s[8:9], v[191:192]
	s_delay_alu instid0(VALU_DEP_4) | instskip(SKIP_1) | instid1(VALU_DEP_4)
	v_add_f64 v[60:61], v[74:75], v[60:61]
	v_mul_f64 v[74:75], v[88:89], s[16:17]
	v_add_f64 v[62:63], v[64:65], v[62:63]
	v_fma_f64 v[64:65], v[118:119], s[30:31], v[183:184]
	s_delay_alu instid0(VALU_DEP_4) | instskip(SKIP_2) | instid1(VALU_DEP_4)
	v_add_f64 v[60:61], v[76:77], v[60:61]
	v_mul_f64 v[76:77], v[80:81], s[8:9]
	v_add_f64 v[74:75], v[74:75], -v[90:91]
	v_add_f64 v[62:63], v[64:65], v[62:63]
	v_fma_f64 v[64:65], v[128:129], s[28:29], v[187:188]
	v_mul_f64 v[80:81], v[106:107], s[24:25]
	v_add_f64 v[76:77], v[76:77], -v[82:83]
	s_delay_alu instid0(VALU_DEP_3)
	v_add_f64 v[64:65], v[64:65], v[62:63]
	v_add_f64 v[62:63], v[78:79], v[60:61]
	v_mul_f64 v[78:79], v[122:123], s[24:25]
	v_add_f64 v[80:81], v[80:81], -v[108:109]
	v_add_f64 v[70:71], v[76:77], v[70:71]
	v_mul_f64 v[76:77], v[132:133], s[28:29]
	v_add_f64 v[60:61], v[66:67], v[64:65]
	v_mul_f64 v[66:67], v[96:97], s[16:17]
	v_mul_f64 v[64:65], v[112:113], s[20:21]
	v_add_f64 v[78:79], v[124:125], v[78:79]
	v_add_f64 v[76:77], v[134:135], v[76:77]
	s_delay_alu instid0(VALU_DEP_4) | instskip(NEXT) | instid1(VALU_DEP_4)
	v_add_f64 v[66:67], v[98:99], v[66:67]
	v_add_f64 v[64:65], v[114:115], v[64:65]
	s_delay_alu instid0(VALU_DEP_2) | instskip(SKIP_2) | instid1(VALU_DEP_3)
	v_add_f64 v[66:67], v[66:67], v[68:69]
	v_add_f64 v[68:69], v[74:75], v[70:71]
	v_mul_f64 v[70:71], v[118:119], s[28:29]
	v_add_f64 v[64:65], v[64:65], v[66:67]
	s_delay_alu instid0(VALU_DEP_3) | instskip(SKIP_1) | instid1(VALU_DEP_4)
	v_add_f64 v[66:67], v[72:73], v[68:69]
	v_mul_f64 v[68:69], v[142:143], s[30:31]
	v_add_f64 v[70:71], v[70:71], -v[120:121]
	v_mul_f64 v[72:73], v[128:129], s[30:31]
	v_add_f64 v[64:65], v[78:79], v[64:65]
	v_add_f64 v[66:67], v[80:81], v[66:67]
	;; [unrolled: 1-line block ×3, first 2 shown]
	s_delay_alu instid0(VALU_DEP_4) | instskip(NEXT) | instid1(VALU_DEP_4)
	v_add_f64 v[72:73], v[72:73], -v[130:131]
	v_add_f64 v[64:65], v[76:77], v[64:65]
	s_delay_alu instid0(VALU_DEP_4) | instskip(SKIP_1) | instid1(VALU_DEP_3)
	v_add_f64 v[66:67], v[70:71], v[66:67]
	v_mul_f64 v[70:71], v[149:150], s[36:37]
	v_add_f64 v[64:65], v[68:69], v[64:65]
	v_mul_f64 v[68:69], v[138:139], s[36:37]
	s_delay_alu instid0(VALU_DEP_3) | instskip(SKIP_1) | instid1(VALU_DEP_3)
	v_add_f64 v[70:71], v[151:152], v[70:71]
	v_add_f64 v[72:73], v[72:73], v[66:67]
	v_add_f64 v[68:69], v[68:69], -v[140:141]
	s_delay_alu instid0(VALU_DEP_3) | instskip(NEXT) | instid1(VALU_DEP_2)
	v_add_f64 v[66:67], v[70:71], v[64:65]
	v_add_f64 v[64:65], v[68:69], v[72:73]
	v_mul_lo_u16 v68, v246, 17
	s_delay_alu instid0(VALU_DEP_1) | instskip(NEXT) | instid1(VALU_DEP_1)
	v_and_b32_e32 v68, 0xffff, v68
	v_add_lshl_u32 v68, v243, v68, 4
	ds_store_b128 v68, v[32:35] offset:32
	ds_store_b128 v68, v[36:39] offset:48
	;; [unrolled: 1-line block ×15, first 2 shown]
	ds_store_b128 v68, v[16:19]
	ds_store_b128 v68, v[0:3] offset:256
.LBB0_7:
	s_or_b32 exec_lo, exec_lo, s33
	v_add_nc_u16 v12, v246, 34
	v_add_co_u32 v14, s0, 0xffffffef, v246
	s_delay_alu instid0(VALU_DEP_1) | instskip(NEXT) | instid1(VALU_DEP_3)
	v_add_co_ci_u32_e64 v15, null, 0, -1, s0
	v_and_b32_e32 v13, 0xff, v12
	v_cmp_gt_u16_e64 s0, 17, v246
	v_add_nc_u16 v16, v246, 0x44
	v_add_nc_u16 v17, v246, 0x66
	;; [unrolled: 1-line block ×3, first 2 shown]
	v_mul_lo_u16 v13, 0xf1, v13
	v_cndmask_b32_e64 v101, v15, 0, s0
	v_cndmask_b32_e64 v100, v14, v246, s0
	v_and_b32_e32 v14, 0xff, v16
	v_add_nc_u16 v20, v246, 0xaa
	v_lshrrev_b16 v19, 12, v13
	v_and_b32_e32 v15, 0xff, v17
	v_add_nc_u16 v21, v246, 0xcc
	v_and_b32_e32 v22, 0xff, v18
	v_mul_lo_u16 v14, 0xf1, v14
	v_mul_lo_u16 v13, v19, 17
	v_and_b32_e32 v23, 0xff, v20
	v_mul_lo_u16 v15, 0xf1, v15
	v_and_b32_e32 v25, 0xff, v21
	v_mul_lo_u16 v22, 0xf1, v22
	v_sub_nc_u16 v24, v12, v13
	v_lshlrev_b64 v[12:13], 4, v[100:101]
	v_lshrrev_b16 v14, 12, v14
	s_load_b128 s[4:7], s[4:5], 0x0
	s_waitcnt lgkmcnt(0)
	v_and_b32_e32 v26, 0xff, v24
	s_barrier
	v_add_co_u32 v12, s0, s2, v12
	s_delay_alu instid0(VALU_DEP_1) | instskip(NEXT) | instid1(VALU_DEP_3)
	v_add_co_ci_u32_e64 v13, s0, s3, v13, s0
	v_lshlrev_b32_e32 v26, 4, v26
	buffer_gl0_inv
	v_mul_lo_u16 v23, 0xf1, v23
	s_clause 0x1
	global_load_b128 v[27:30], v[12:13], off
	global_load_b128 v[164:167], v26, s[2:3]
	v_lshrrev_b16 v12, 12, v15
	v_mul_lo_u16 v13, 0xf1, v25
	v_lshrrev_b16 v15, 12, v22
	v_mul_lo_u16 v22, v14, 17
	;; [unrolled: 2-line block ×4, first 2 shown]
	v_sub_nc_u16 v16, v16, v22
	v_mul_lo_u16 v22, v23, 17
	v_sub_nc_u16 v17, v17, v25
	v_mul_lo_u16 v25, v13, 17
	v_sub_nc_u16 v18, v18, v26
	v_and_b32_e32 v16, 0xff, v16
	v_sub_nc_u16 v20, v20, v22
	v_and_b32_e32 v17, 0xff, v17
	;; [unrolled: 2-line block ×3, first 2 shown]
	v_lshlrev_b32_e32 v22, 4, v16
	v_and_b32_e32 v20, 0xff, v20
	v_lshlrev_b32_e32 v25, 4, v17
	v_and_b32_e32 v21, 0xff, v21
	v_lshlrev_b32_e32 v26, 4, v18
	global_load_b128 v[101:104], v22, s[2:3]
	v_add_lshl_u32 v161, v243, v246, 4
	global_load_b128 v[105:108], v25, s[2:3]
	v_lshlrev_b32_e32 v22, 4, v20
	v_lshlrev_b32_e32 v25, 4, v21
	s_clause 0x2
	global_load_b128 v[109:112], v26, s[2:3]
	global_load_b128 v[35:38], v22, s[2:3]
	;; [unrolled: 1-line block ×3, first 2 shown]
	ds_load_b128 v[40:43], v161 offset:3808
	ds_load_b128 v[44:47], v161 offset:4352
	;; [unrolled: 1-line block ×8, first 2 shown]
	v_cmp_lt_u16_e64 s0, 16, v246
	v_and_b32_e32 v14, 0xffff, v14
	v_and_b32_e32 v12, 0xffff, v12
	;; [unrolled: 1-line block ×4, first 2 shown]
	v_cndmask_b32_e64 v22, 0, 34, s0
	v_mad_u16 v19, v19, 34, v24
	v_mul_u32_u24_e32 v14, 34, v14
	v_mul_u32_u24_e32 v12, 34, v12
	;; [unrolled: 1-line block ×3, first 2 shown]
	v_add_nc_u32_e32 v22, v100, v22
	v_mul_u32_u24_e32 v13, 34, v13
	v_and_b32_e32 v19, 0xff, v19
	v_add_nc_u32_e32 v14, v14, v16
	v_add_nc_u32_e32 v12, v12, v17
	v_add_lshl_u32 v239, v243, v22, 4
	v_and_b32_e32 v22, 0xffff, v23
	v_add_nc_u32_e32 v15, v15, v18
	v_add_nc_u32_e32 v13, v13, v21
	v_add_lshl_u32 v17, v243, v19, 4
	v_add_lshl_u32 v255, v243, v14, 4
	v_mul_u32_u24_e32 v22, 34, v22
	v_add_lshl_u32 v240, v243, v12, 4
	v_add_lshl_u32 v170, v243, v15, 4
	v_add_lshl_u32 v168, v243, v13, 4
	s_mov_b32 s0, 0x37e14327
	v_add_nc_u32_e32 v16, v22, v20
	s_mov_b32 s8, 0xe976ee23
	s_mov_b32 s1, 0x3fe948f6
	;; [unrolled: 1-line block ×4, first 2 shown]
	v_add_lshl_u32 v169, v243, v16, 4
	s_mov_b32 s11, 0x3febfeb5
	s_mov_b32 s16, 0xaaaaaaaa
	;; [unrolled: 1-line block ×7, first 2 shown]
	v_lshlrev_b32_e32 v148, 4, v246
	s_waitcnt vmcnt(6) lgkmcnt(7)
	v_mul_f64 v[72:73], v[42:43], v[29:30]
	v_mul_f64 v[74:75], v[40:41], v[29:30]
	s_waitcnt vmcnt(5) lgkmcnt(6)
	v_mul_f64 v[76:77], v[46:47], v[166:167]
	v_mul_f64 v[78:79], v[44:45], v[166:167]
	scratch_store_b128 off, v[27:30], off   ; 16-byte Folded Spill
	s_waitcnt vmcnt(4) lgkmcnt(5)
	v_mul_f64 v[80:81], v[50:51], v[103:104]
	v_mul_f64 v[82:83], v[48:49], v[103:104]
	s_waitcnt vmcnt(3) lgkmcnt(4)
	v_mul_f64 v[84:85], v[54:55], v[107:108]
	v_mul_f64 v[86:87], v[52:53], v[107:108]
	scratch_store_b128 off, v[101:104], off offset:48 ; 16-byte Folded Spill
	s_waitcnt vmcnt(2) lgkmcnt(3)
	v_mul_f64 v[88:89], v[58:59], v[111:112]
	s_waitcnt vmcnt(1)
	scratch_store_b128 off, v[35:38], off offset:32 ; 16-byte Folded Spill
	v_mul_f64 v[90:91], v[56:57], v[111:112]
	s_waitcnt lgkmcnt(2)
	v_mul_f64 v[92:93], v[62:63], v[37:38]
	v_mul_f64 v[94:95], v[60:61], v[37:38]
	s_waitcnt vmcnt(0) lgkmcnt(1)
	v_mul_f64 v[96:97], v[66:67], v[33:34]
	v_mul_f64 v[98:99], v[64:65], v[33:34]
	s_clause 0x1
	scratch_store_b128 off, v[105:108], off offset:64
	scratch_store_b128 off, v[109:112], off offset:80
	v_fma_f64 v[72:73], v[40:41], v[27:28], -v[72:73]
	v_fma_f64 v[74:75], v[42:43], v[27:28], v[74:75]
	v_fma_f64 v[76:77], v[44:45], v[164:165], -v[76:77]
	v_fma_f64 v[78:79], v[46:47], v[164:165], v[78:79]
	scratch_store_b128 off, v[31:34], off offset:16 ; 16-byte Folded Spill
	v_fma_f64 v[80:81], v[48:49], v[101:102], -v[80:81]
	v_fma_f64 v[82:83], v[50:51], v[101:102], v[82:83]
	v_fma_f64 v[84:85], v[52:53], v[105:106], -v[84:85]
	v_fma_f64 v[86:87], v[54:55], v[105:106], v[86:87]
	;; [unrolled: 2-line block ×5, first 2 shown]
	ds_load_b128 v[40:43], v161
	ds_load_b128 v[44:47], v161 offset:544
	ds_load_b128 v[48:51], v161 offset:1088
	;; [unrolled: 1-line block ×5, first 2 shown]
	s_waitcnt lgkmcnt(0)
	s_waitcnt_vscnt null, 0x0
	s_barrier
	buffer_gl0_inv
	v_add_f64 v[72:73], v[40:41], -v[72:73]
	v_add_f64 v[74:75], v[42:43], -v[74:75]
	;; [unrolled: 1-line block ×14, first 2 shown]
	v_mad_u64_u32 v[64:65], null, 0x60, v246, s[2:3]
	s_mov_b32 s2, 0x36b3c0b5
	s_mov_b32 s3, 0x3fac98ee
	v_fma_f64 v[40:41], v[40:41], 2.0, -v[72:73]
	v_fma_f64 v[42:43], v[42:43], 2.0, -v[74:75]
	;; [unrolled: 1-line block ×4, first 2 shown]
	ds_store_b128 v239, v[40:43]
	ds_store_b128 v239, v[72:75] offset:272
	ds_store_b128 v17, v[44:47]
	v_fma_f64 v[48:49], v[48:49], 2.0, -v[80:81]
	v_fma_f64 v[50:51], v[50:51], 2.0, -v[82:83]
	;; [unrolled: 1-line block ×10, first 2 shown]
	scratch_store_b32 off, v17, off offset:304 ; 4-byte Folded Spill
	ds_store_b128 v17, v[76:79] offset:272
	ds_store_b128 v255, v[48:51]
	ds_store_b128 v255, v[80:83] offset:272
	ds_store_b128 v240, v[52:55]
	;; [unrolled: 2-line block ×5, first 2 shown]
	ds_store_b128 v168, v[96:99] offset:272
	s_waitcnt lgkmcnt(0)
	s_waitcnt_vscnt null, 0x0
	s_barrier
	buffer_gl0_inv
	s_clause 0x5
	global_load_b128 v[16:19], v[64:65], off offset:272
	global_load_b128 v[12:15], v[64:65], off offset:288
	global_load_b128 v[28:31], v[64:65], off offset:352
	global_load_b128 v[32:35], v[64:65], off offset:336
	global_load_b128 v[24:27], v[64:65], off offset:304
	global_load_b128 v[20:23], v[64:65], off offset:320
	ds_load_b128 v[66:69], v161 offset:1088
	ds_load_b128 v[70:73], v161 offset:2176
	;; [unrolled: 1-line block ×12, first 2 shown]
	s_waitcnt vmcnt(5) lgkmcnt(11)
	v_mul_f64 v[114:115], v[68:69], v[18:19]
	v_mul_f64 v[116:117], v[66:67], v[18:19]
	s_waitcnt vmcnt(4) lgkmcnt(10)
	v_mul_f64 v[118:119], v[72:73], v[14:15]
	v_mul_f64 v[120:121], v[70:71], v[14:15]
	;; [unrolled: 3-line block ×4, first 2 shown]
	s_waitcnt lgkmcnt(7)
	v_mul_f64 v[130:131], v[84:85], v[18:19]
	v_mul_f64 v[132:133], v[82:83], v[18:19]
	s_waitcnt lgkmcnt(6)
	v_mul_f64 v[134:135], v[88:89], v[14:15]
	v_mul_f64 v[136:137], v[86:87], v[14:15]
	;; [unrolled: 3-line block ×4, first 2 shown]
	s_waitcnt vmcnt(1) lgkmcnt(2)
	v_mul_f64 v[146:147], v[104:105], v[26:27]
	v_mul_f64 v[149:150], v[102:103], v[26:27]
	s_waitcnt vmcnt(0)
	v_mul_f64 v[151:152], v[100:101], v[22:23]
	v_mul_f64 v[153:154], v[98:99], v[22:23]
	s_clause 0x5
	scratch_store_b128 off, v[16:19], off offset:112
	scratch_store_b128 off, v[12:15], off offset:96
	;; [unrolled: 1-line block ×6, first 2 shown]
	v_fma_f64 v[66:67], v[66:67], v[16:17], -v[114:115]
	v_fma_f64 v[68:69], v[68:69], v[16:17], v[116:117]
	v_fma_f64 v[70:71], v[70:71], v[12:13], -v[118:119]
	v_fma_f64 v[72:73], v[72:73], v[12:13], v[120:121]
	;; [unrolled: 2-line block ×4, first 2 shown]
	s_waitcnt lgkmcnt(1)
	v_mul_f64 v[114:115], v[108:109], v[26:27]
	v_mul_f64 v[116:117], v[106:107], v[26:27]
	s_waitcnt lgkmcnt(0)
	v_mul_f64 v[118:119], v[112:113], v[22:23]
	v_mul_f64 v[120:121], v[110:111], v[22:23]
	v_fma_f64 v[82:83], v[82:83], v[16:17], -v[130:131]
	v_fma_f64 v[84:85], v[84:85], v[16:17], v[132:133]
	v_fma_f64 v[86:87], v[86:87], v[12:13], -v[134:135]
	v_fma_f64 v[88:89], v[88:89], v[12:13], v[136:137]
	;; [unrolled: 2-line block ×6, first 2 shown]
	v_mul_i32_i24_e32 v12, 0xffffffb0, v246
	v_mul_hi_i32_i24_e32 v13, 0xffffffb0, v246
	v_add_f64 v[122:123], v[66:67], v[74:75]
	v_add_f64 v[124:125], v[68:69], v[76:77]
	;; [unrolled: 1-line block ×4, first 2 shown]
	v_fma_f64 v[106:107], v[106:107], v[24:25], -v[114:115]
	v_fma_f64 v[108:109], v[108:109], v[24:25], v[116:117]
	v_fma_f64 v[110:111], v[110:111], v[20:21], -v[118:119]
	v_fma_f64 v[112:113], v[112:113], v[20:21], v[120:121]
	v_add_f64 v[78:79], v[70:71], -v[78:79]
	v_add_f64 v[80:81], v[72:73], -v[80:81]
	;; [unrolled: 1-line block ×4, first 2 shown]
	v_add_f64 v[114:115], v[82:83], v[90:91]
	v_add_f64 v[116:117], v[84:85], v[92:93]
	v_add_f64 v[118:119], v[86:87], v[94:95]
	v_add_f64 v[120:121], v[88:89], v[96:97]
	v_add_f64 v[86:87], v[86:87], -v[94:95]
	v_add_f64 v[88:89], v[88:89], -v[96:97]
	v_add_f64 v[130:131], v[102:103], v[98:99]
	v_add_f64 v[132:133], v[104:105], v[100:101]
	v_add_f64 v[98:99], v[98:99], -v[102:103]
	v_add_f64 v[100:101], v[100:101], -v[104:105]
	;; [unrolled: 1-line block ×4, first 2 shown]
	v_add_f64 v[66:67], v[126:127], v[122:123]
	v_add_f64 v[68:69], v[128:129], v[124:125]
	;; [unrolled: 1-line block ×4, first 2 shown]
	v_add_f64 v[94:95], v[110:111], -v[106:107]
	v_add_f64 v[96:97], v[112:113], -v[108:109]
	;; [unrolled: 1-line block ×4, first 2 shown]
	v_add_f64 v[90:91], v[118:119], v[114:115]
	v_add_f64 v[92:93], v[120:121], v[116:117]
	v_add_f64 v[102:103], v[122:123], -v[130:131]
	v_add_f64 v[104:105], v[124:125], -v[132:133]
	;; [unrolled: 1-line block ×10, first 2 shown]
	v_add_f64 v[78:79], v[98:99], v[78:79]
	v_add_f64 v[80:81], v[100:101], v[80:81]
	v_add_f64 v[98:99], v[74:75], -v[98:99]
	v_add_f64 v[100:101], v[76:77], -v[100:101]
	v_add_f64 v[130:131], v[130:131], v[66:67]
	v_add_f64 v[132:133], v[132:133], v[68:69]
	v_add_f64 v[138:139], v[114:115], -v[70:71]
	v_add_f64 v[140:141], v[116:117], -v[72:73]
	;; [unrolled: 1-line block ×6, first 2 shown]
	v_add_f64 v[86:87], v[94:95], v[86:87]
	v_add_f64 v[88:89], v[96:97], v[88:89]
	v_add_f64 v[90:91], v[70:71], v[90:91]
	v_add_f64 v[92:93], v[72:73], v[92:93]
	ds_load_b128 v[66:69], v161
	ds_load_b128 v[70:73], v161 offset:544
	v_mul_f64 v[155:156], v[134:135], s[10:11]
	v_mul_f64 v[102:103], v[102:103], s[0:1]
	;; [unrolled: 1-line block ×8, first 2 shown]
	v_add_f64 v[94:95], v[82:83], -v[94:95]
	v_add_f64 v[96:97], v[84:85], -v[96:97]
	v_mul_f64 v[159:160], v[146:147], s[10:11]
	v_mul_f64 v[162:163], v[149:150], s[10:11]
	v_add_f64 v[114:115], v[118:119], -v[114:115]
	v_add_f64 v[116:117], v[120:121], -v[116:117]
	v_add_f64 v[74:75], v[78:79], v[74:75]
	v_add_f64 v[76:77], v[80:81], v[76:77]
	s_waitcnt lgkmcnt(0)
	s_waitcnt_vscnt null, 0x0
	s_barrier
	buffer_gl0_inv
	v_add_f64 v[66:67], v[66:67], v[130:131]
	v_add_f64 v[68:69], v[68:69], v[132:133]
	v_mul_f64 v[138:139], v[138:139], s[0:1]
	v_mul_f64 v[140:141], v[140:141], s[0:1]
	;; [unrolled: 1-line block ×6, first 2 shown]
	s_mov_b32 s0, 0x5476071b
	s_mov_b32 s1, 0x3fe77f67
	v_add_f64 v[70:71], v[70:71], v[90:91]
	v_add_f64 v[72:73], v[72:73], v[92:93]
	s_mov_b32 s9, 0xbfe77f67
	s_mov_b32 s8, s0
	v_add_f64 v[78:79], v[86:87], v[82:83]
	v_add_f64 v[80:81], v[88:89], v[84:85]
	v_fma_f64 v[82:83], v[106:107], s[2:3], v[102:103]
	v_fma_f64 v[84:85], v[108:109], s[2:3], v[104:105]
	v_fma_f64 v[86:87], v[122:123], s[0:1], -v[126:127]
	v_fma_f64 v[88:89], v[124:125], s[0:1], -v[128:129]
	v_fma_f64 v[106:107], v[98:99], s[18:19], v[110:111]
	v_fma_f64 v[108:109], v[100:101], s[18:19], v[112:113]
	v_fma_f64 v[98:99], v[98:99], s[20:21], -v[155:156]
	v_fma_f64 v[100:101], v[100:101], s[20:21], -v[157:158]
	;; [unrolled: 1-line block ×6, first 2 shown]
	v_fma_f64 v[126:127], v[130:131], s[16:17], v[66:67]
	v_fma_f64 v[128:129], v[132:133], s[16:17], v[68:69]
	;; [unrolled: 1-line block ×6, first 2 shown]
	v_fma_f64 v[134:135], v[146:147], s[10:11], -v[142:143]
	v_fma_f64 v[136:137], v[149:150], s[10:11], -v[144:145]
	;; [unrolled: 1-line block ×4, first 2 shown]
	v_fma_f64 v[90:91], v[90:91], s[16:17], v[70:71]
	v_fma_f64 v[92:93], v[92:93], s[16:17], v[72:73]
	v_fma_f64 v[138:139], v[114:115], s[8:9], -v[138:139]
	v_fma_f64 v[140:141], v[116:117], s[8:9], -v[140:141]
	;; [unrolled: 1-line block ×4, first 2 shown]
	s_mov_b32 s0, 0x37c3f68c
	s_mov_b32 s1, 0x3fdc38aa
	v_lshl_add_u32 v163, v246, 4, v244
	v_fma_f64 v[106:107], v[74:75], s[0:1], v[106:107]
	v_fma_f64 v[108:109], v[76:77], s[0:1], v[108:109]
	;; [unrolled: 1-line block ×6, first 2 shown]
	v_add_f64 v[118:119], v[82:83], v[126:127]
	v_add_f64 v[120:121], v[84:85], v[128:129]
	;; [unrolled: 1-line block ×6, first 2 shown]
	v_fma_f64 v[126:127], v[78:79], s[0:1], v[130:131]
	v_fma_f64 v[128:129], v[80:81], s[0:1], v[132:133]
	;; [unrolled: 1-line block ×6, first 2 shown]
	v_add_f64 v[122:123], v[122:123], v[90:91]
	v_add_f64 v[124:125], v[124:125], v[92:93]
	;; [unrolled: 1-line block ×6, first 2 shown]
	v_add_co_u32 v64, s0, v64, v12
	s_delay_alu instid0(VALU_DEP_1)
	v_add_co_ci_u32_e64 v65, s0, v65, v13, s0
	v_add_f64 v[74:75], v[108:109], v[118:119]
	v_add_f64 v[76:77], v[120:121], -v[106:107]
	v_add_f64 v[78:79], v[100:101], v[102:103]
	v_add_f64 v[80:81], v[104:105], -v[98:99]
	v_add_f64 v[82:83], v[86:87], -v[112:113]
	v_add_f64 v[84:85], v[110:111], v[88:89]
	v_add_f64 v[86:87], v[112:113], v[86:87]
	v_add_f64 v[88:89], v[88:89], -v[110:111]
	v_add_f64 v[90:91], v[102:103], -v[100:101]
	v_add_f64 v[92:93], v[98:99], v[104:105]
	v_add_f64 v[94:95], v[118:119], -v[108:109]
	v_add_f64 v[96:97], v[106:107], v[120:121]
	v_add_f64 v[98:99], v[128:129], v[122:123]
	v_add_f64 v[100:101], v[124:125], -v[126:127]
	v_add_f64 v[102:103], v[136:137], v[138:139]
	v_add_f64 v[104:105], v[140:141], -v[134:135]
	v_add_f64 v[106:107], v[114:115], -v[132:133]
	v_add_f64 v[108:109], v[130:131], v[116:117]
	v_add_f64 v[110:111], v[132:133], v[114:115]
	v_add_f64 v[112:113], v[116:117], -v[130:131]
	v_add_f64 v[114:115], v[138:139], -v[136:137]
	v_add_f64 v[116:117], v[134:135], v[140:141]
	v_add_f64 v[118:119], v[122:123], -v[128:129]
	v_add_f64 v[120:121], v[126:127], v[124:125]
	v_add_co_u32 v122, s0, 0x1000, v64
	s_delay_alu instid0(VALU_DEP_1)
	v_add_co_ci_u32_e64 v123, s0, 0, v65, s0
	ds_store_b128 v161, v[66:69]
	ds_store_b128 v161, v[74:77] offset:544
	ds_store_b128 v161, v[78:81] offset:1088
	;; [unrolled: 1-line block ×13, first 2 shown]
	s_waitcnt lgkmcnt(0)
	s_barrier
	buffer_gl0_inv
	s_clause 0x6
	global_load_b128 v[16:19], v[64:65], off offset:3536
	global_load_b128 v[12:15], v[64:65], off offset:4080
	;; [unrolled: 1-line block ×7, first 2 shown]
	ds_load_b128 v[92:95], v161 offset:3808
	ds_load_b128 v[96:99], v161 offset:4352
	;; [unrolled: 1-line block ×8, first 2 shown]
	s_waitcnt vmcnt(6) lgkmcnt(7)
	v_mul_f64 v[124:125], v[94:95], v[18:19]
	v_mul_f64 v[126:127], v[92:93], v[18:19]
	s_waitcnt vmcnt(5) lgkmcnt(6)
	v_mul_f64 v[128:129], v[98:99], v[14:15]
	v_mul_f64 v[130:131], v[96:97], v[14:15]
	;; [unrolled: 3-line block ×7, first 2 shown]
	s_clause 0x6
	scratch_store_b128 off, v[16:19], off offset:208
	scratch_store_b128 off, v[12:15], off offset:192
	;; [unrolled: 1-line block ×7, first 2 shown]
	v_fma_f64 v[124:125], v[92:93], v[16:17], -v[124:125]
	v_fma_f64 v[126:127], v[94:95], v[16:17], v[126:127]
	v_fma_f64 v[153:154], v[96:97], v[12:13], -v[128:129]
	v_fma_f64 v[155:156], v[98:99], v[12:13], v[130:131]
	;; [unrolled: 2-line block ×7, first 2 shown]
	ds_load_b128 v[92:95], v161
	ds_load_b128 v[104:107], v161 offset:544
	ds_load_b128 v[112:115], v161 offset:1088
	;; [unrolled: 1-line block ×5, first 2 shown]
	s_waitcnt lgkmcnt(5)
	v_add_f64 v[96:97], v[92:93], -v[124:125]
	v_add_f64 v[98:99], v[94:95], -v[126:127]
	s_waitcnt lgkmcnt(4)
	v_add_f64 v[100:101], v[104:105], -v[153:154]
	v_add_f64 v[102:103], v[106:107], -v[155:156]
	;; [unrolled: 3-line block ×6, first 2 shown]
	v_add_f64 v[116:117], v[120:121], -v[116:117]
	v_add_f64 v[118:119], v[122:123], -v[118:119]
	v_fma_f64 v[92:93], v[92:93], 2.0, -v[96:97]
	v_fma_f64 v[94:95], v[94:95], 2.0, -v[98:99]
	;; [unrolled: 1-line block ×14, first 2 shown]
	v_add_nc_u32_e32 v149, v148, v244
	ds_store_b128 v163, v[100:103] offset:4352
	ds_store_b128 v163, v[92:95]
	ds_store_b128 v163, v[104:107] offset:544
	ds_store_b128 v163, v[96:99] offset:3808
	;; [unrolled: 1-line block ×12, first 2 shown]
	s_waitcnt lgkmcnt(0)
	s_waitcnt_vscnt null, 0x0
	s_barrier
	buffer_gl0_inv
	s_and_saveexec_b32 s2, vcc_lo
	s_cbranch_execz .LBB0_9
; %bb.8:
	s_add_u32 s0, s12, 0x1dc0
	s_addc_u32 s1, s13, 0
	v_or_b32_e32 v12, 0x1c00, v245
	s_clause 0x4
	global_load_b128 v[150:153], v245, s[0:1]
	global_load_b128 v[154:157], v245, s[0:1] offset:448
	global_load_b128 v[171:174], v245, s[0:1] offset:896
	;; [unrolled: 1-line block ×4, first 2 shown]
	ds_load_b128 v[183:186], v163
	ds_load_b128 v[187:190], v163 offset:448
	global_load_b128 v[191:194], v12, s[0:1]
	s_waitcnt vmcnt(5) lgkmcnt(1)
	v_mul_f64 v[158:159], v[185:186], v[152:153]
	v_mul_f64 v[152:153], v[183:184], v[152:153]
	s_waitcnt vmcnt(4) lgkmcnt(0)
	v_mul_f64 v[195:196], v[189:190], v[156:157]
	v_mul_f64 v[197:198], v[187:188], v[156:157]
	s_delay_alu instid0(VALU_DEP_4) | instskip(NEXT) | instid1(VALU_DEP_4)
	v_fma_f64 v[156:157], v[183:184], v[150:151], -v[158:159]
	v_fma_f64 v[158:159], v[185:186], v[150:151], v[152:153]
	ds_load_b128 v[150:153], v163 offset:896
	ds_load_b128 v[183:186], v163 offset:1344
	v_fma_f64 v[187:188], v[187:188], v[154:155], -v[195:196]
	v_fma_f64 v[189:190], v[189:190], v[154:155], v[197:198]
	ds_load_b128 v[195:198], v163 offset:1792
	s_waitcnt vmcnt(3) lgkmcnt(2)
	v_mul_f64 v[154:155], v[152:153], v[173:174]
	v_mul_f64 v[173:174], v[150:151], v[173:174]
	s_waitcnt vmcnt(2) lgkmcnt(1)
	v_mul_f64 v[199:200], v[185:186], v[177:178]
	v_mul_f64 v[177:178], v[183:184], v[177:178]
	s_delay_alu instid0(VALU_DEP_4) | instskip(NEXT) | instid1(VALU_DEP_4)
	v_fma_f64 v[150:151], v[150:151], v[171:172], -v[154:155]
	v_fma_f64 v[152:153], v[152:153], v[171:172], v[173:174]
	global_load_b128 v[171:174], v245, s[0:1] offset:2240
	v_fma_f64 v[183:184], v[183:184], v[175:176], -v[199:200]
	v_fma_f64 v[185:186], v[185:186], v[175:176], v[177:178]
	ds_load_b128 v[175:178], v163 offset:2240
	s_waitcnt vmcnt(2) lgkmcnt(1)
	v_mul_f64 v[154:155], v[197:198], v[181:182]
	v_mul_f64 v[181:182], v[195:196], v[181:182]
	s_delay_alu instid0(VALU_DEP_2) | instskip(NEXT) | instid1(VALU_DEP_2)
	v_fma_f64 v[195:196], v[195:196], v[179:180], -v[154:155]
	v_fma_f64 v[197:198], v[197:198], v[179:180], v[181:182]
	global_load_b128 v[179:182], v245, s[0:1] offset:2688
	s_waitcnt vmcnt(1) lgkmcnt(0)
	v_mul_f64 v[154:155], v[177:178], v[173:174]
	v_mul_f64 v[199:200], v[175:176], v[173:174]
	s_delay_alu instid0(VALU_DEP_2) | instskip(NEXT) | instid1(VALU_DEP_2)
	v_fma_f64 v[173:174], v[175:176], v[171:172], -v[154:155]
	v_fma_f64 v[175:176], v[177:178], v[171:172], v[199:200]
	ds_load_b128 v[199:202], v163 offset:2688
	ds_load_b128 v[203:206], v163 offset:3136
	s_waitcnt vmcnt(0) lgkmcnt(1)
	v_mul_f64 v[154:155], v[201:202], v[181:182]
	v_mul_f64 v[171:172], v[199:200], v[181:182]
	s_delay_alu instid0(VALU_DEP_2) | instskip(NEXT) | instid1(VALU_DEP_2)
	v_fma_f64 v[177:178], v[199:200], v[179:180], -v[154:155]
	v_fma_f64 v[179:180], v[201:202], v[179:180], v[171:172]
	s_clause 0x1
	global_load_b128 v[199:202], v245, s[0:1] offset:3136
	global_load_b128 v[207:210], v245, s[0:1] offset:3584
	ds_load_b128 v[211:214], v163 offset:3584
	ds_load_b128 v[215:218], v163 offset:4032
	s_waitcnt vmcnt(1) lgkmcnt(2)
	v_mul_f64 v[154:155], v[205:206], v[201:202]
	v_mul_f64 v[171:172], v[203:204], v[201:202]
	s_delay_alu instid0(VALU_DEP_2) | instskip(SKIP_2) | instid1(VALU_DEP_3)
	v_fma_f64 v[201:202], v[203:204], v[199:200], -v[154:155]
	s_waitcnt vmcnt(0) lgkmcnt(1)
	v_mul_f64 v[154:155], v[213:214], v[209:210]
	v_fma_f64 v[203:204], v[205:206], v[199:200], v[171:172]
	v_mul_f64 v[171:172], v[211:212], v[209:210]
	s_delay_alu instid0(VALU_DEP_3) | instskip(SKIP_3) | instid1(VALU_DEP_1)
	v_fma_f64 v[205:206], v[211:212], v[207:208], -v[154:155]
	global_load_b128 v[209:212], v245, s[0:1] offset:4032
	v_fma_f64 v[207:208], v[213:214], v[207:208], v[171:172]
	v_add_co_u32 v12, s0, s0, v245
	v_add_co_ci_u32_e64 v13, null, s1, 0, s0
	s_waitcnt vmcnt(0) lgkmcnt(0)
	v_mul_f64 v[154:155], v[217:218], v[211:212]
	v_mul_f64 v[171:172], v[215:216], v[211:212]
	s_delay_alu instid0(VALU_DEP_2) | instskip(SKIP_1) | instid1(VALU_DEP_1)
	v_fma_f64 v[211:212], v[215:216], v[209:210], -v[154:155]
	v_add_co_u32 v154, s0, 0x1000, v12
	v_add_co_ci_u32_e64 v155, s0, 0, v13, s0
	s_delay_alu instid0(VALU_DEP_4)
	v_fma_f64 v[213:214], v[217:218], v[209:210], v[171:172]
	s_clause 0x1
	global_load_b128 v[215:218], v[154:155], off offset:384
	global_load_b128 v[219:222], v[154:155], off offset:832
	ds_load_b128 v[223:226], v163 offset:4480
	ds_load_b128 v[227:230], v163 offset:4928
	v_mov_b32_e32 v12, v249
	s_waitcnt vmcnt(1) lgkmcnt(1)
	v_mul_f64 v[171:172], v[225:226], v[217:218]
	v_mul_f64 v[181:182], v[223:224], v[217:218]
	s_delay_alu instid0(VALU_DEP_2) | instskip(NEXT) | instid1(VALU_DEP_2)
	v_fma_f64 v[223:224], v[223:224], v[215:216], -v[171:172]
	v_fma_f64 v[225:226], v[225:226], v[215:216], v[181:182]
	s_waitcnt vmcnt(0) lgkmcnt(0)
	v_mul_f64 v[171:172], v[229:230], v[221:222]
	v_mul_f64 v[181:182], v[227:228], v[221:222]
	s_delay_alu instid0(VALU_DEP_2) | instskip(NEXT) | instid1(VALU_DEP_2)
	v_fma_f64 v[215:216], v[227:228], v[219:220], -v[171:172]
	v_fma_f64 v[217:218], v[229:230], v[219:220], v[181:182]
	s_clause 0x1
	global_load_b128 v[219:222], v[154:155], off offset:1280
	global_load_b128 v[227:230], v[154:155], off offset:1728
	ds_load_b128 v[231:234], v163 offset:5376
	ds_load_b128 v[235:238], v163 offset:5824
	s_waitcnt vmcnt(1) lgkmcnt(1)
	v_mul_f64 v[171:172], v[233:234], v[221:222]
	v_mul_f64 v[181:182], v[231:232], v[221:222]
	s_delay_alu instid0(VALU_DEP_2) | instskip(NEXT) | instid1(VALU_DEP_2)
	v_fma_f64 v[231:232], v[231:232], v[219:220], -v[171:172]
	v_fma_f64 v[233:234], v[233:234], v[219:220], v[181:182]
	s_waitcnt vmcnt(0) lgkmcnt(0)
	v_mul_f64 v[171:172], v[237:238], v[229:230]
	v_mul_f64 v[181:182], v[235:236], v[229:230]
	s_delay_alu instid0(VALU_DEP_2) | instskip(NEXT) | instid1(VALU_DEP_2)
	v_fma_f64 v[219:220], v[235:236], v[227:228], -v[171:172]
	v_fma_f64 v[221:222], v[237:238], v[227:228], v[181:182]
	s_clause 0x1
	global_load_b128 v[227:230], v[154:155], off offset:2176
	global_load_b128 v[235:238], v[154:155], off offset:2624
	ds_load_b128 v[247:250], v163 offset:6272
	ds_load_b128 v[251:254], v163 offset:6720
	s_waitcnt vmcnt(1) lgkmcnt(1)
	v_mul_f64 v[154:155], v[249:250], v[229:230]
	v_mul_f64 v[171:172], v[247:248], v[229:230]
	s_delay_alu instid0(VALU_DEP_2) | instskip(NEXT) | instid1(VALU_DEP_2)
	v_fma_f64 v[247:248], v[247:248], v[227:228], -v[154:155]
	v_fma_f64 v[249:250], v[249:250], v[227:228], v[171:172]
	s_waitcnt vmcnt(0) lgkmcnt(0)
	v_mul_f64 v[154:155], v[253:254], v[237:238]
	v_mul_f64 v[171:172], v[251:252], v[237:238]
	s_delay_alu instid0(VALU_DEP_2) | instskip(NEXT) | instid1(VALU_DEP_2)
	v_fma_f64 v[227:228], v[251:252], v[235:236], -v[154:155]
	v_fma_f64 v[229:230], v[253:254], v[235:236], v[171:172]
	ds_load_b128 v[235:238], v163 offset:7168
	ds_store_b128 v163, v[156:159]
	ds_store_b128 v163, v[187:190] offset:448
	ds_store_b128 v163, v[150:153] offset:896
	;; [unrolled: 1-line block ×14, first 2 shown]
	v_mov_b32_e32 v249, v12
	s_waitcnt lgkmcnt(15)
	v_mul_f64 v[154:155], v[237:238], v[193:194]
	v_mul_f64 v[171:172], v[235:236], v[193:194]
	s_delay_alu instid0(VALU_DEP_2) | instskip(NEXT) | instid1(VALU_DEP_2)
	v_fma_f64 v[235:236], v[235:236], v[191:192], -v[154:155]
	v_fma_f64 v[237:238], v[237:238], v[191:192], v[171:172]
	ds_store_b128 v163, v[227:230] offset:6720
	ds_store_b128 v163, v[235:238] offset:7168
.LBB0_9:
	s_or_b32 exec_lo, exec_lo, s2
	s_waitcnt lgkmcnt(0)
	s_barrier
	buffer_gl0_inv
	s_and_saveexec_b32 s0, vcc_lo
	s_cbranch_execz .LBB0_11
; %bb.10:
	ds_load_b128 v[92:95], v163
	ds_load_b128 v[96:99], v163 offset:448
	ds_load_b128 v[104:107], v163 offset:896
	;; [unrolled: 1-line block ×16, first 2 shown]
.LBB0_11:
	s_or_b32 exec_lo, exec_lo, s0
	v_add_nc_u32_e32 v153, 0x440, v149
	v_add_nc_u32_e32 v152, 0x660, v149
	;; [unrolled: 1-line block ×5, first 2 shown]
	s_waitcnt lgkmcnt(0)
	s_barrier
	buffer_gl0_inv
	s_and_saveexec_b32 s33, vcc_lo
	s_cbranch_execz .LBB0_13
; %bb.12:
	s_clause 0x3
	scratch_store_b32 off, v149, off offset:324
	scratch_store_b32 off, v150, off offset:328
	scratch_store_b32 off, v151, off offset:332
	scratch_store_b32 off, v152, off offset:336
	v_add_f64 v[151:152], v[92:93], v[96:97]
	v_add_f64 v[149:150], v[94:95], v[98:99]
	scratch_store_b32 off, v153, off offset:340 ; 4-byte Folded Spill
	s_mov_b32 s24, 0x6c9a05f6
	s_mov_b32 s25, 0xbfe9895b
	;; [unrolled: 1-line block ×35, first 2 shown]
	v_add_f64 v[151:152], v[151:152], v[104:105]
	v_add_f64 v[149:150], v[149:150], v[106:107]
	s_mov_b32 s0, 0x7faef3
	s_mov_b32 s22, 0x370991
	;; [unrolled: 1-line block ×5, first 2 shown]
	v_dual_mov_b32 v16, v249 :: v_dual_mov_b32 v175, v242
	s_mov_b32 s51, 0x3fe9895b
	s_mov_b32 s50, s24
	s_mov_b32 s53, 0x3feec746
	s_mov_b32 s52, s46
	v_dual_mov_b32 v162, v169 :: v_dual_mov_b32 v17, v255
	v_dual_mov_b32 v12, v170 :: v_dual_mov_b32 v255, v244
	;; [unrolled: 1-line block ×3, first 2 shown]
	v_mov_b32_e32 v148, v246
	v_mov_b32_e32 v246, v245
	v_add_f64 v[151:152], v[151:152], v[100:101]
	v_add_f64 v[149:150], v[149:150], v[102:103]
	s_delay_alu instid0(VALU_DEP_2) | instskip(NEXT) | instid1(VALU_DEP_2)
	v_add_f64 v[151:152], v[151:152], v[112:113]
	v_add_f64 v[149:150], v[149:150], v[114:115]
	s_delay_alu instid0(VALU_DEP_2) | instskip(NEXT) | instid1(VALU_DEP_2)
	;; [unrolled: 3-line block ×5, first 2 shown]
	v_add_f64 v[155:156], v[151:152], v[144:145]
	v_add_f64 v[153:154], v[149:150], v[146:147]
	v_add_f64 v[151:152], v[144:145], -v[136:137]
	v_add_f64 v[144:145], v[144:145], v[136:137]
	v_add_f64 v[149:150], v[146:147], v[138:139]
	v_add_f64 v[146:147], v[146:147], -v[138:139]
	v_add_f64 v[155:156], v[155:156], v[136:137]
	v_add_f64 v[157:158], v[153:154], v[138:139]
	;; [unrolled: 1-line block ×3, first 2 shown]
	v_add_f64 v[153:154], v[134:135], -v[142:143]
	v_add_f64 v[138:139], v[132:133], -v[140:141]
	v_add_f64 v[132:133], v[132:133], v[140:141]
	v_add_f64 v[134:135], v[130:131], v[126:127]
	v_add_f64 v[130:131], v[130:131], -v[126:127]
	v_mul_f64 v[253:254], v[151:152], s[26:27]
	v_mul_f64 v[171:172], v[151:152], s[44:45]
	;; [unrolled: 1-line block ×7, first 2 shown]
	v_add_f64 v[155:156], v[155:156], v[140:141]
	v_add_f64 v[142:143], v[157:158], v[142:143]
	v_add_f64 v[140:141], v[128:129], -v[124:125]
	v_add_f64 v[128:129], v[128:129], v[124:125]
	v_mul_f64 v[24:25], v[138:139], s[38:39]
	v_mul_f64 v[76:77], v[138:139], s[44:45]
	;; [unrolled: 1-line block ×5, first 2 shown]
	v_fma_f64 v[30:31], v[149:150], s[0:1], -v[28:29]
	v_fma_f64 v[82:83], v[149:150], s[22:23], -v[80:81]
	;; [unrolled: 1-line block ×3, first 2 shown]
	v_add_f64 v[155:156], v[155:156], v[124:125]
	v_add_f64 v[157:158], v[142:143], v[126:127]
	;; [unrolled: 1-line block ×3, first 2 shown]
	v_add_f64 v[142:143], v[110:111], -v[122:123]
	v_add_f64 v[110:111], v[112:113], v[116:117]
	v_add_f64 v[126:127], v[108:109], -v[120:121]
	v_add_f64 v[108:109], v[108:109], v[120:121]
	v_mul_f64 v[20:21], v[140:141], s[24:25]
	v_fma_f64 v[26:27], v[136:137], s[2:3], -v[24:25]
	v_mul_f64 v[72:73], v[140:141], s[52:53]
	v_fma_f64 v[78:79], v[136:137], s[18:19], -v[76:77]
	v_mul_f64 v[244:245], v[140:141], s[38:39]
	v_fma_f64 v[50:51], v[136:137], s[8:9], -v[48:49]
	v_fma_f64 v[46:47], v[128:129], s[2:3], v[44:45]
	v_fma_f64 v[58:59], v[136:137], s[22:23], -v[56:57]
	v_fma_f64 v[56:57], v[136:137], s[22:23], v[56:57]
	v_fma_f64 v[44:45], v[128:129], s[2:3], -v[44:45]
	v_fma_f64 v[48:49], v[136:137], s[8:9], v[48:49]
	v_add_f64 v[155:156], v[155:156], v[120:121]
	v_add_f64 v[157:158], v[157:158], v[122:123]
	v_add_f64 v[122:123], v[112:113], -v[116:117]
	v_add_f64 v[120:121], v[114:115], v[118:119]
	v_add_f64 v[114:115], v[114:115], -v[118:119]
	v_add_f64 v[112:113], v[102:103], v[10:11]
	v_mul_f64 v[42:43], v[126:127], s[46:47]
	v_mul_f64 v[62:63], v[142:143], s[46:47]
	v_fma_f64 v[22:23], v[134:135], s[8:9], -v[20:21]
	v_fma_f64 v[74:75], v[134:135], s[10:11], -v[72:73]
	v_mul_f64 v[60:61], v[126:127], s[36:37]
	v_mul_f64 v[242:243], v[142:143], s[36:37]
	v_add_f64 v[155:156], v[155:156], v[116:117]
	v_add_f64 v[157:158], v[157:158], v[118:119]
	v_add_f64 v[116:117], v[100:101], -v[8:9]
	v_add_f64 v[100:101], v[100:101], v[8:9]
	v_add_f64 v[118:119], v[102:103], -v[10:11]
	v_add_f64 v[102:103], v[106:107], v[6:7]
	v_fma_f64 v[14:15], v[124:125], s[10:11], -v[42:43]
	v_fma_f64 v[18:19], v[108:109], s[10:11], v[62:63]
	v_mul_f64 v[64:65], v[122:123], s[30:31]
	v_add_f64 v[8:9], v[155:156], v[8:9]
	v_add_f64 v[10:11], v[157:158], v[10:11]
	v_add_f64 v[157:158], v[104:105], -v[4:5]
	v_add_f64 v[104:105], v[104:105], v[4:5]
	v_add_f64 v[155:156], v[106:107], -v[6:7]
	v_mul_f64 v[36:37], v[116:117], s[24:25]
	v_fma_f64 v[66:67], v[120:121], s[0:1], -v[64:65]
	v_add_f64 v[4:5], v[8:9], v[4:5]
	v_add_f64 v[8:9], v[96:97], -v[0:1]
	v_add_f64 v[6:7], v[10:11], v[6:7]
	v_add_f64 v[10:11], v[98:99], -v[2:3]
	v_add_f64 v[98:99], v[98:99], v[2:3]
	v_add_f64 v[96:97], v[96:97], v[0:1]
	v_mul_f64 v[32:33], v[155:156], s[42:43]
	v_fma_f64 v[38:39], v[112:113], s[8:9], -v[36:37]
	v_mul_f64 v[84:85], v[155:156], s[24:25]
	v_add_f64 v[0:1], v[4:5], v[0:1]
	v_mul_f64 v[106:107], v[8:9], s[24:25]
	v_add_f64 v[2:3], v[6:7], v[2:3]
	v_mul_f64 v[200:201], v[10:11], s[24:25]
	v_mul_f64 v[159:160], v[8:9], s[46:47]
	v_mul_f64 v[202:203], v[10:11], s[46:47]
	v_mul_f64 v[176:177], v[8:9], s[42:43]
	v_mul_f64 v[204:205], v[10:11], s[42:43]
	v_mul_f64 v[178:179], v[8:9], s[36:37]
	v_mul_f64 v[206:207], v[10:11], s[36:37]
	v_mul_f64 v[180:181], v[8:9], s[48:49]
	v_mul_f64 v[208:209], v[10:11], s[48:49]
	v_mul_f64 v[4:5], v[8:9], s[30:31]
	v_mul_f64 v[6:7], v[8:9], s[38:39]
	v_mul_f64 v[8:9], v[8:9], s[28:29]
	v_mul_f64 v[198:199], v[10:11], s[38:39]
	v_fma_f64 v[34:35], v[104:105], s[16:17], v[32:33]
	v_fma_f64 v[86:87], v[104:105], s[8:9], v[84:85]
	;; [unrolled: 1-line block ×3, first 2 shown]
	v_fma_f64 v[106:107], v[98:99], s[8:9], -v[106:107]
	scratch_store_b128 off, v[0:3], off offset:344 ; 16-byte Folded Spill
	v_fma_f64 v[214:215], v[96:97], s[8:9], -v[200:201]
	v_fma_f64 v[200:201], v[96:97], s[8:9], v[200:201]
	v_fma_f64 v[188:189], v[98:99], s[10:11], v[159:160]
	v_fma_f64 v[216:217], v[96:97], s[10:11], -v[202:203]
	v_fma_f64 v[190:191], v[98:99], s[16:17], v[176:177]
	v_fma_f64 v[218:219], v[96:97], s[16:17], -v[204:205]
	v_fma_f64 v[192:193], v[98:99], s[18:19], -v[178:179]
	v_fma_f64 v[178:179], v[98:99], s[18:19], v[178:179]
	v_fma_f64 v[220:221], v[96:97], s[18:19], v[206:207]
	v_fma_f64 v[206:207], v[96:97], s[18:19], -v[206:207]
	v_fma_f64 v[194:195], v[98:99], s[20:21], -v[180:181]
	v_fma_f64 v[180:181], v[98:99], s[20:21], v[180:181]
	v_fma_f64 v[222:223], v[96:97], s[20:21], v[208:209]
	v_fma_f64 v[208:209], v[96:97], s[20:21], -v[208:209]
	v_fma_f64 v[182:183], v[98:99], s[0:1], v[4:5]
	v_fma_f64 v[4:5], v[98:99], s[0:1], -v[4:5]
	;; [unrolled: 2-line block ×3, first 2 shown]
	v_fma_f64 v[159:160], v[98:99], s[10:11], -v[159:160]
	v_fma_f64 v[176:177], v[98:99], s[16:17], -v[176:177]
	;; [unrolled: 1-line block ×3, first 2 shown]
	v_fma_f64 v[8:9], v[98:99], s[22:23], v[8:9]
	v_mul_f64 v[98:99], v[10:11], s[30:31]
	v_mul_f64 v[10:11], v[10:11], s[28:29]
	v_fma_f64 v[212:213], v[96:97], s[2:3], -v[198:199]
	v_fma_f64 v[198:199], v[96:97], s[2:3], v[198:199]
	v_fma_f64 v[202:203], v[96:97], s[10:11], v[202:203]
	;; [unrolled: 1-line block ×3, first 2 shown]
	v_add_f64 v[186:187], v[94:95], v[186:187]
	v_add_f64 v[0:1], v[94:95], v[106:107]
	v_mul_f64 v[106:107], v[155:156], s[48:49]
	v_add_f64 v[214:215], v[92:93], v[214:215]
	v_add_f64 v[192:193], v[94:95], v[192:193]
	;; [unrolled: 1-line block ×8, first 2 shown]
	v_fma_f64 v[210:211], v[96:97], s[0:1], -v[98:99]
	v_fma_f64 v[98:99], v[96:97], s[0:1], v[98:99]
	v_fma_f64 v[224:225], v[96:97], s[22:23], v[10:11]
	v_fma_f64 v[10:11], v[96:97], s[22:23], -v[10:11]
	v_add_f64 v[212:213], v[92:93], v[212:213]
	v_add_f64 v[198:199], v[92:93], v[198:199]
	;; [unrolled: 1-line block ×4, first 2 shown]
	v_mul_f64 v[96:97], v[122:123], s[42:43]
	scratch_store_b64 off, v[0:1], off offset:464 ; 8-byte Folded Spill
	v_add_f64 v[0:1], v[92:93], v[200:201]
	v_add_f64 v[200:201], v[94:95], v[159:160]
	;; [unrolled: 1-line block ×5, first 2 shown]
	v_mul_f64 v[98:99], v[116:117], s[36:37]
	scratch_store_b64 off, v[0:1], off offset:456 ; 8-byte Folded Spill
	v_add_f64 v[0:1], v[94:95], v[188:189]
	v_add_f64 v[188:189], v[94:95], v[194:195]
	;; [unrolled: 1-line block ×3, first 2 shown]
	scratch_store_b64 off, v[0:1], off offset:448 ; 8-byte Folded Spill
	v_add_f64 v[0:1], v[92:93], v[216:217]
	v_mul_f64 v[216:217], v[157:158], s[48:49]
	scratch_store_b64 off, v[0:1], off offset:440 ; 8-byte Folded Spill
	v_add_f64 v[0:1], v[94:95], v[190:191]
	v_add_f64 v[190:191], v[94:95], v[196:197]
	;; [unrolled: 1-line block ×3, first 2 shown]
	scratch_store_b64 off, v[0:1], off offset:432 ; 8-byte Folded Spill
	v_add_f64 v[0:1], v[92:93], v[218:219]
	v_add_f64 v[34:35], v[34:35], v[196:197]
	v_mul_f64 v[218:219], v[114:115], s[40:41]
	scratch_store_b64 off, v[0:1], off offset:424 ; 8-byte Folded Spill
	v_add_f64 v[0:1], v[94:95], v[178:179]
	scratch_store_b64 off, v[0:1], off offset:416 ; 8-byte Folded Spill
	v_add_f64 v[0:1], v[92:93], v[206:207]
	;; [unrolled: 2-line block ×5, first 2 shown]
	v_mul_f64 v[8:9], v[157:158], s[40:41]
	scratch_store_b64 off, v[0:1], off offset:384 ; 8-byte Folded Spill
	v_add_f64 v[0:1], v[92:93], v[10:11]
	v_fma_f64 v[4:5], v[102:103], s[22:23], v[8:9]
	v_mul_f64 v[92:93], v[116:117], s[38:39]
	v_mul_f64 v[10:11], v[155:156], s[40:41]
	v_fma_f64 v[8:9], v[102:103], s[22:23], -v[8:9]
	scratch_store_b64 off, v[0:1], off offset:376 ; 8-byte Folded Spill
	v_add_f64 v[4:5], v[4:5], v[182:183]
	v_fma_f64 v[94:95], v[112:113], s[2:3], v[92:93]
	v_fma_f64 v[6:7], v[104:105], s[22:23], -v[10:11]
	v_add_f64 v[8:9], v[8:9], v[226:227]
	v_fma_f64 v[10:11], v[104:105], s[22:23], v[10:11]
	v_fma_f64 v[92:93], v[112:113], s[2:3], -v[92:93]
	s_clause 0x1
	scratch_store_b32 off, v241, off offset:308
	scratch_store_b32 off, v240, off offset:316
	v_mul_f64 v[240:241], v[146:147], s[26:27]
	s_clause 0x1
	scratch_store_b32 off, v239, off offset:312
	scratch_store_b32 off, v168, off offset:320
	v_mul_f64 v[168:169], v[118:119], s[36:37]
	v_add_f64 v[4:5], v[94:95], v[4:5]
	v_mul_f64 v[94:95], v[118:119], s[38:39]
	v_add_f64 v[6:7], v[6:7], v[210:211]
	v_add_f64 v[10:11], v[10:11], v[228:229]
	;; [unrolled: 1-line block ×3, first 2 shown]
	s_delay_alu instid0(VALU_DEP_4) | instskip(SKIP_2) | instid1(VALU_DEP_3)
	v_fma_f64 v[176:177], v[100:101], s[2:3], -v[94:95]
	v_fma_f64 v[92:93], v[100:101], s[2:3], v[94:95]
	v_fma_f64 v[94:95], v[144:145], s[16:17], v[240:241]
	v_add_f64 v[6:7], v[176:177], v[6:7]
	v_mul_f64 v[176:177], v[122:123], s[34:35]
	s_delay_alu instid0(VALU_DEP_4) | instskip(NEXT) | instid1(VALU_DEP_2)
	v_add_f64 v[10:11], v[92:93], v[10:11]
	v_fma_f64 v[178:179], v[120:121], s[20:21], v[176:177]
	v_fma_f64 v[92:93], v[120:121], s[20:21], -v[176:177]
	v_mul_f64 v[176:177], v[157:158], s[44:45]
	s_delay_alu instid0(VALU_DEP_3) | instskip(SKIP_1) | instid1(VALU_DEP_4)
	v_add_f64 v[4:5], v[178:179], v[4:5]
	v_mul_f64 v[178:179], v[114:115], s[34:35]
	v_add_f64 v[8:9], v[92:93], v[8:9]
	s_delay_alu instid0(VALU_DEP_2) | instskip(SKIP_2) | instid1(VALU_DEP_3)
	v_fma_f64 v[180:181], v[110:111], s[20:21], -v[178:179]
	v_fma_f64 v[92:93], v[110:111], s[20:21], v[178:179]
	v_mul_f64 v[178:179], v[155:156], s[44:45]
	v_add_f64 v[6:7], v[180:181], v[6:7]
	v_mul_f64 v[180:181], v[126:127], s[24:25]
	s_delay_alu instid0(VALU_DEP_4) | instskip(NEXT) | instid1(VALU_DEP_2)
	v_add_f64 v[10:11], v[92:93], v[10:11]
	v_fma_f64 v[182:183], v[124:125], s[8:9], v[180:181]
	v_fma_f64 v[92:93], v[124:125], s[8:9], -v[180:181]
	v_mul_f64 v[180:181], v[116:117], s[42:43]
	s_delay_alu instid0(VALU_DEP_3) | instskip(SKIP_1) | instid1(VALU_DEP_4)
	v_add_f64 v[4:5], v[182:183], v[4:5]
	v_mul_f64 v[182:183], v[142:143], s[24:25]
	v_add_f64 v[8:9], v[92:93], v[8:9]
	s_delay_alu instid0(VALU_DEP_2) | instskip(SKIP_3) | instid1(VALU_DEP_4)
	v_fma_f64 v[208:209], v[108:109], s[8:9], -v[182:183]
	v_fma_f64 v[92:93], v[108:109], s[8:9], v[182:183]
	v_fma_f64 v[182:183], v[112:113], s[16:17], v[180:181]
	v_fma_f64 v[180:181], v[112:113], s[16:17], -v[180:181]
	v_add_f64 v[6:7], v[208:209], v[6:7]
	v_mul_f64 v[208:209], v[140:141], s[44:45]
	v_add_f64 v[10:11], v[92:93], v[10:11]
	s_delay_alu instid0(VALU_DEP_2) | instskip(SKIP_1) | instid1(VALU_DEP_2)
	v_fma_f64 v[210:211], v[134:135], s[18:19], v[208:209]
	v_fma_f64 v[92:93], v[134:135], s[18:19], -v[208:209]
	v_add_f64 v[4:5], v[210:211], v[4:5]
	v_mul_f64 v[210:211], v[130:131], s[44:45]
	s_delay_alu instid0(VALU_DEP_3) | instskip(NEXT) | instid1(VALU_DEP_2)
	v_add_f64 v[8:9], v[92:93], v[8:9]
	v_fma_f64 v[224:225], v[128:129], s[18:19], -v[210:211]
	v_fma_f64 v[92:93], v[128:129], s[18:19], v[210:211]
	s_delay_alu instid0(VALU_DEP_2) | instskip(SKIP_1) | instid1(VALU_DEP_3)
	v_add_f64 v[6:7], v[224:225], v[6:7]
	v_mul_f64 v[224:225], v[138:139], s[46:47]
	v_add_f64 v[10:11], v[92:93], v[10:11]
	s_delay_alu instid0(VALU_DEP_2) | instskip(SKIP_1) | instid1(VALU_DEP_2)
	v_fma_f64 v[249:250], v[136:137], s[10:11], v[224:225]
	v_fma_f64 v[92:93], v[136:137], s[10:11], -v[224:225]
	v_add_f64 v[4:5], v[249:250], v[4:5]
	v_mul_f64 v[249:250], v[153:154], s[46:47]
	s_delay_alu instid0(VALU_DEP_3) | instskip(NEXT) | instid1(VALU_DEP_2)
	v_add_f64 v[8:9], v[92:93], v[8:9]
	v_fma_f64 v[92:93], v[132:133], s[10:11], v[249:250]
	v_fma_f64 v[251:252], v[132:133], s[10:11], -v[249:250]
	s_delay_alu instid0(VALU_DEP_2) | instskip(NEXT) | instid1(VALU_DEP_2)
	v_add_f64 v[92:93], v[92:93], v[10:11]
	v_add_f64 v[251:252], v[251:252], v[6:7]
	v_fma_f64 v[6:7], v[149:150], s[16:17], v[253:254]
	v_fma_f64 v[10:11], v[149:150], s[16:17], -v[253:254]
	v_mul_f64 v[253:254], v[146:147], s[46:47]
	v_add_f64 v[236:237], v[94:95], v[92:93]
	v_fma_f64 v[92:93], v[102:103], s[18:19], v[176:177]
	v_fma_f64 v[94:95], v[104:105], s[18:19], -v[178:179]
	v_fma_f64 v[176:177], v[102:103], s[18:19], -v[176:177]
	v_fma_f64 v[178:179], v[104:105], s[18:19], v[178:179]
	v_add_f64 v[2:3], v[6:7], v[4:5]
	v_fma_f64 v[4:5], v[144:145], s[16:17], -v[240:241]
	v_add_f64 v[238:239], v[10:11], v[8:9]
	v_mul_f64 v[8:9], v[114:115], s[52:53]
	v_add_f64 v[92:93], v[92:93], v[184:185]
	v_add_f64 v[94:95], v[94:95], v[212:213]
	;; [unrolled: 1-line block ×4, first 2 shown]
	v_mul_f64 v[230:231], v[142:143], s[26:27]
	v_add_f64 v[0:1], v[4:5], v[251:252]
	v_mul_f64 v[251:252], v[151:152], s[46:47]
	s_mov_b32 s47, 0x3fe0d888
	s_mov_b32 s46, s38
	v_mul_f64 v[4:5], v[126:127], s[34:35]
	v_mul_f64 v[68:69], v[126:127], s[46:47]
	;; [unrolled: 1-line block ×3, first 2 shown]
	v_add_f64 v[92:93], v[182:183], v[92:93]
	v_mul_f64 v[182:183], v[118:119], s[42:43]
	v_add_f64 v[176:177], v[180:181], v[176:177]
	scratch_store_b128 off, v[0:3], off offset:360 ; 16-byte Folded Spill
	v_mul_f64 v[2:3], v[140:141], s[28:29]
	v_mul_f64 v[0:1], v[138:139], s[42:43]
	v_fma_f64 v[6:7], v[124:125], s[20:21], -v[4:5]
	v_fma_f64 v[70:71], v[124:125], s[2:3], -v[68:69]
	v_fma_f64 v[4:5], v[124:125], s[20:21], v[4:5]
	v_fma_f64 v[184:185], v[100:101], s[16:17], -v[182:183]
	v_fma_f64 v[180:181], v[100:101], s[16:17], v[182:183]
	v_fma_f64 v[182:183], v[144:145], s[10:11], v[253:254]
	v_fma_f64 v[10:11], v[134:135], s[22:23], -v[2:3]
	v_fma_f64 v[2:3], v[134:135], s[22:23], v[2:3]
	v_add_f64 v[94:95], v[184:185], v[94:95]
	v_mul_f64 v[184:185], v[122:123], s[50:51]
	v_add_f64 v[178:179], v[180:181], v[178:179]
	s_delay_alu instid0(VALU_DEP_2) | instskip(SKIP_1) | instid1(VALU_DEP_2)
	v_fma_f64 v[208:209], v[120:121], s[8:9], v[184:185]
	v_fma_f64 v[180:181], v[120:121], s[8:9], -v[184:185]
	v_add_f64 v[92:93], v[208:209], v[92:93]
	v_mul_f64 v[208:209], v[114:115], s[50:51]
	s_delay_alu instid0(VALU_DEP_3) | instskip(NEXT) | instid1(VALU_DEP_2)
	v_add_f64 v[176:177], v[180:181], v[176:177]
	v_fma_f64 v[210:211], v[110:111], s[8:9], -v[208:209]
	v_fma_f64 v[180:181], v[110:111], s[8:9], v[208:209]
	v_mul_f64 v[208:209], v[157:158], s[52:53]
	s_delay_alu instid0(VALU_DEP_3) | instskip(SKIP_1) | instid1(VALU_DEP_4)
	v_add_f64 v[94:95], v[210:211], v[94:95]
	v_mul_f64 v[210:211], v[126:127], s[28:29]
	v_add_f64 v[178:179], v[180:181], v[178:179]
	s_delay_alu instid0(VALU_DEP_2) | instskip(SKIP_2) | instid1(VALU_DEP_3)
	v_fma_f64 v[212:213], v[124:125], s[22:23], v[210:211]
	v_fma_f64 v[180:181], v[124:125], s[22:23], -v[210:211]
	v_mul_f64 v[210:211], v[155:156], s[52:53]
	v_add_f64 v[92:93], v[212:213], v[92:93]
	v_mul_f64 v[212:213], v[142:143], s[28:29]
	s_delay_alu instid0(VALU_DEP_4) | instskip(NEXT) | instid1(VALU_DEP_2)
	v_add_f64 v[176:177], v[180:181], v[176:177]
	v_fma_f64 v[224:225], v[108:109], s[22:23], -v[212:213]
	v_fma_f64 v[180:181], v[108:109], s[22:23], v[212:213]
	v_mul_f64 v[212:213], v[116:117], s[28:29]
	s_delay_alu instid0(VALU_DEP_3) | instskip(SKIP_1) | instid1(VALU_DEP_4)
	v_add_f64 v[94:95], v[224:225], v[94:95]
	v_mul_f64 v[224:225], v[140:141], s[30:31]
	v_add_f64 v[178:179], v[180:181], v[178:179]
	s_delay_alu instid0(VALU_DEP_4) | instskip(NEXT) | instid1(VALU_DEP_3)
	v_fma_f64 v[184:185], v[112:113], s[22:23], v[212:213]
	v_fma_f64 v[226:227], v[134:135], s[0:1], v[224:225]
	v_fma_f64 v[180:181], v[134:135], s[0:1], -v[224:225]
	v_mul_f64 v[224:225], v[122:123], s[38:39]
	s_delay_alu instid0(VALU_DEP_3) | instskip(SKIP_1) | instid1(VALU_DEP_4)
	v_add_f64 v[92:93], v[226:227], v[92:93]
	v_mul_f64 v[226:227], v[130:131], s[30:31]
	v_add_f64 v[176:177], v[180:181], v[176:177]
	s_delay_alu instid0(VALU_DEP_2) | instskip(SKIP_2) | instid1(VALU_DEP_3)
	v_fma_f64 v[228:229], v[128:129], s[0:1], -v[226:227]
	v_fma_f64 v[180:181], v[128:129], s[0:1], v[226:227]
	v_mul_f64 v[226:227], v[114:115], s[38:39]
	v_add_f64 v[94:95], v[228:229], v[94:95]
	v_mul_f64 v[228:229], v[138:139], s[34:35]
	s_delay_alu instid0(VALU_DEP_4) | instskip(NEXT) | instid1(VALU_DEP_2)
	v_add_f64 v[178:179], v[180:181], v[178:179]
	v_fma_f64 v[240:241], v[136:137], s[20:21], v[228:229]
	v_fma_f64 v[180:181], v[136:137], s[20:21], -v[228:229]
	v_mul_f64 v[228:229], v[126:127], s[26:27]
	v_mul_f64 v[126:127], v[126:127], s[30:31]
	s_delay_alu instid0(VALU_DEP_4) | instskip(SKIP_2) | instid1(VALU_DEP_2)
	v_add_f64 v[92:93], v[240:241], v[92:93]
	v_mul_f64 v[240:241], v[153:154], s[34:35]
	v_add_f64 v[176:177], v[180:181], v[176:177]
	v_fma_f64 v[180:181], v[132:133], s[20:21], v[240:241]
	v_fma_f64 v[249:250], v[132:133], s[20:21], -v[240:241]
	v_mul_f64 v[240:241], v[140:141], s[48:49]
	s_delay_alu instid0(VALU_DEP_3) | instskip(SKIP_1) | instid1(VALU_DEP_4)
	v_add_f64 v[180:181], v[180:181], v[178:179]
	v_fma_f64 v[178:179], v[149:150], s[10:11], -v[251:252]
	v_add_f64 v[249:250], v[249:250], v[94:95]
	v_fma_f64 v[94:95], v[149:150], s[10:11], v[251:252]
	v_mul_f64 v[251:252], v[138:139], s[30:31]
	scratch_load_b64 v[138:139], off, off offset:464 ; 8-byte Folded Reload
	v_add_f64 v[178:179], v[178:179], v[176:177]
	v_add_f64 v[176:177], v[182:183], v[180:181]
	v_fma_f64 v[180:181], v[102:103], s[10:11], v[208:209]
	v_fma_f64 v[182:183], v[104:105], s[10:11], -v[210:211]
	v_add_f64 v[234:235], v[94:95], v[92:93]
	v_fma_f64 v[92:93], v[144:145], s[10:11], -v[253:254]
	v_mul_f64 v[253:254], v[153:154], s[30:31]
	v_fma_f64 v[94:95], v[136:137], s[16:17], -v[0:1]
	v_fma_f64 v[0:1], v[136:137], s[16:17], v[0:1]
	v_add_f64 v[180:181], v[180:181], v[186:187]
	v_add_f64 v[182:183], v[182:183], v[214:215]
	v_mul_f64 v[214:215], v[118:119], s[28:29]
	v_add_f64 v[232:233], v[92:93], v[249:250]
	v_mul_f64 v[249:250], v[130:131], s[48:49]
	v_fma_f64 v[186:187], v[104:105], s[20:21], v[106:107]
	v_mul_f64 v[92:93], v[114:115], s[42:43]
	v_add_f64 v[180:181], v[184:185], v[180:181]
	v_fma_f64 v[184:185], v[100:101], s[22:23], -v[214:215]
	s_delay_alu instid0(VALU_DEP_4) | instskip(NEXT) | instid1(VALU_DEP_2)
	v_add_f64 v[186:187], v[186:187], v[194:195]
	v_add_f64 v[182:183], v[184:185], v[182:183]
	v_fma_f64 v[184:185], v[120:121], s[2:3], v[224:225]
	s_delay_alu instid0(VALU_DEP_1) | instskip(SKIP_1) | instid1(VALU_DEP_1)
	v_add_f64 v[180:181], v[184:185], v[180:181]
	v_fma_f64 v[184:185], v[110:111], s[2:3], -v[226:227]
	v_add_f64 v[182:183], v[184:185], v[182:183]
	v_fma_f64 v[184:185], v[124:125], s[16:17], v[228:229]
	s_delay_alu instid0(VALU_DEP_1) | instskip(SKIP_1) | instid1(VALU_DEP_1)
	v_add_f64 v[180:181], v[184:185], v[180:181]
	v_fma_f64 v[184:185], v[108:109], s[16:17], -v[230:231]
	v_add_f64 v[182:183], v[184:185], v[182:183]
	v_fma_f64 v[184:185], v[134:135], s[20:21], v[240:241]
	s_delay_alu instid0(VALU_DEP_1) | instskip(SKIP_1) | instid1(VALU_DEP_1)
	v_add_f64 v[180:181], v[184:185], v[180:181]
	v_fma_f64 v[184:185], v[128:129], s[20:21], -v[249:250]
	v_add_f64 v[182:183], v[184:185], v[182:183]
	v_fma_f64 v[184:185], v[136:137], s[0:1], v[251:252]
	s_delay_alu instid0(VALU_DEP_1) | instskip(SKIP_1) | instid1(VALU_DEP_1)
	v_add_f64 v[180:181], v[184:185], v[180:181]
	v_fma_f64 v[184:185], v[132:133], s[0:1], -v[253:254]
	v_add_f64 v[184:185], v[184:185], v[182:183]
	v_fma_f64 v[182:183], v[149:150], s[18:19], v[171:172]
	s_delay_alu instid0(VALU_DEP_1) | instskip(SKIP_1) | instid1(VALU_DEP_1)
	v_add_f64 v[182:183], v[182:183], v[180:181]
	v_fma_f64 v[180:181], v[144:145], s[18:19], -v[173:174]
	v_add_f64 v[180:181], v[180:181], v[184:185]
	v_fma_f64 v[184:185], v[102:103], s[20:21], -v[216:217]
	s_delay_alu instid0(VALU_DEP_1) | instskip(SKIP_1) | instid1(VALU_DEP_1)
	v_add_f64 v[184:185], v[184:185], v[190:191]
	v_fma_f64 v[190:191], v[112:113], s[18:19], -v[98:99]
	v_add_f64 v[184:185], v[190:191], v[184:185]
	v_fma_f64 v[190:191], v[100:101], s[18:19], v[168:169]
	s_delay_alu instid0(VALU_DEP_1) | instskip(SKIP_1) | instid1(VALU_DEP_1)
	v_add_f64 v[186:187], v[190:191], v[186:187]
	v_fma_f64 v[190:191], v[120:121], s[16:17], -v[96:97]
	v_add_f64 v[184:185], v[190:191], v[184:185]
	v_fma_f64 v[190:191], v[110:111], s[16:17], v[92:93]
	s_delay_alu instid0(VALU_DEP_2) | instskip(NEXT) | instid1(VALU_DEP_2)
	v_add_f64 v[14:15], v[14:15], v[184:185]
	v_add_f64 v[186:187], v[190:191], v[186:187]
	s_delay_alu instid0(VALU_DEP_2) | instskip(SKIP_1) | instid1(VALU_DEP_3)
	v_add_f64 v[14:15], v[22:23], v[14:15]
	v_mul_f64 v[22:23], v[130:131], s[24:25]
	v_add_f64 v[18:19], v[18:19], v[186:187]
	s_delay_alu instid0(VALU_DEP_3) | instskip(NEXT) | instid1(VALU_DEP_3)
	v_add_f64 v[14:15], v[26:27], v[14:15]
	v_fma_f64 v[184:185], v[128:129], s[8:9], v[22:23]
	v_mul_f64 v[26:27], v[153:154], s[38:39]
	s_delay_alu instid0(VALU_DEP_3) | instskip(NEXT) | instid1(VALU_DEP_3)
	v_add_f64 v[186:187], v[30:31], v[14:15]
	v_add_f64 v[18:19], v[184:185], v[18:19]
	s_delay_alu instid0(VALU_DEP_3) | instskip(SKIP_1) | instid1(VALU_DEP_2)
	v_fma_f64 v[184:185], v[132:133], s[2:3], v[26:27]
	v_mul_f64 v[14:15], v[146:147], s[30:31]
	v_add_f64 v[18:19], v[184:185], v[18:19]
	s_delay_alu instid0(VALU_DEP_2) | instskip(NEXT) | instid1(VALU_DEP_1)
	v_fma_f64 v[30:31], v[144:145], s[0:1], v[14:15]
	v_add_f64 v[184:185], v[30:31], v[18:19]
	v_mul_f64 v[18:19], v[157:158], s[42:43]
	s_delay_alu instid0(VALU_DEP_1) | instskip(NEXT) | instid1(VALU_DEP_1)
	v_fma_f64 v[30:31], v[102:103], s[16:17], -v[18:19]
	v_add_f64 v[30:31], v[30:31], v[188:189]
	s_delay_alu instid0(VALU_DEP_1) | instskip(SKIP_1) | instid1(VALU_DEP_2)
	v_add_f64 v[30:31], v[38:39], v[30:31]
	v_mul_f64 v[38:39], v[118:119], s[24:25]
	v_add_f64 v[30:31], v[66:67], v[30:31]
	s_delay_alu instid0(VALU_DEP_2) | instskip(SKIP_1) | instid1(VALU_DEP_3)
	v_fma_f64 v[188:189], v[100:101], s[8:9], v[38:39]
	v_mul_f64 v[66:67], v[114:115], s[30:31]
	v_add_f64 v[30:31], v[70:71], v[30:31]
	s_delay_alu instid0(VALU_DEP_3) | instskip(NEXT) | instid1(VALU_DEP_3)
	v_add_f64 v[34:35], v[188:189], v[34:35]
	v_fma_f64 v[188:189], v[110:111], s[0:1], v[66:67]
	v_mul_f64 v[70:71], v[142:143], s[46:47]
	s_delay_alu instid0(VALU_DEP_4) | instskip(SKIP_1) | instid1(VALU_DEP_4)
	v_add_f64 v[30:31], v[74:75], v[30:31]
	v_mul_f64 v[74:75], v[130:131], s[52:53]
	v_add_f64 v[34:35], v[188:189], v[34:35]
	s_delay_alu instid0(VALU_DEP_4) | instskip(NEXT) | instid1(VALU_DEP_4)
	v_fma_f64 v[188:189], v[108:109], s[2:3], v[70:71]
	v_add_f64 v[30:31], v[78:79], v[30:31]
	v_mul_f64 v[78:79], v[153:154], s[44:45]
	s_mov_b32 s45, 0x3fc7851a
	s_delay_alu instid0(VALU_DEP_3) | instskip(SKIP_2) | instid1(SALU_CYCLE_1)
	v_add_f64 v[34:35], v[188:189], v[34:35]
	v_fma_f64 v[188:189], v[128:129], s[10:11], v[74:75]
	s_mov_b32 s44, s30
	v_mul_f64 v[88:89], v[118:119], s[44:45]
	v_mul_f64 v[220:221], v[116:117], s[44:45]
	v_add_f64 v[190:191], v[82:83], v[30:31]
	v_mul_f64 v[30:31], v[146:147], s[40:41]
	v_add_f64 v[34:35], v[188:189], v[34:35]
	v_fma_f64 v[188:189], v[132:133], s[18:19], v[78:79]
	v_fma_f64 v[90:91], v[100:101], s[0:1], v[88:89]
	s_delay_alu instid0(VALU_DEP_4) | instskip(NEXT) | instid1(VALU_DEP_3)
	v_fma_f64 v[82:83], v[144:145], s[22:23], v[30:31]
	v_add_f64 v[34:35], v[188:189], v[34:35]
	s_delay_alu instid0(VALU_DEP_3) | instskip(SKIP_1) | instid1(VALU_DEP_3)
	v_add_f64 v[86:87], v[90:91], v[86:87]
	v_mul_f64 v[90:91], v[122:123], s[52:53]
	v_add_f64 v[188:189], v[82:83], v[34:35]
	v_mul_f64 v[34:35], v[157:158], s[24:25]
	s_delay_alu instid0(VALU_DEP_1) | instskip(SKIP_1) | instid1(VALU_DEP_2)
	v_fma_f64 v[82:83], v[102:103], s[8:9], -v[34:35]
	v_fma_f64 v[34:35], v[102:103], s[8:9], v[34:35]
	v_add_f64 v[82:83], v[82:83], v[192:193]
	v_fma_f64 v[192:193], v[112:113], s[0:1], -v[220:221]
	s_delay_alu instid0(VALU_DEP_1) | instskip(SKIP_1) | instid1(VALU_DEP_1)
	v_add_f64 v[82:83], v[192:193], v[82:83]
	v_fma_f64 v[192:193], v[120:121], s[10:11], -v[90:91]
	v_add_f64 v[82:83], v[192:193], v[82:83]
	v_fma_f64 v[192:193], v[110:111], s[10:11], v[8:9]
	v_fma_f64 v[8:9], v[110:111], s[10:11], -v[8:9]
	s_delay_alu instid0(VALU_DEP_3) | instskip(SKIP_1) | instid1(VALU_DEP_4)
	v_add_f64 v[6:7], v[6:7], v[82:83]
	v_mul_f64 v[82:83], v[142:143], s[34:35]
	v_add_f64 v[86:87], v[192:193], v[86:87]
	v_mul_f64 v[142:143], v[142:143], s[30:31]
	s_delay_alu instid0(VALU_DEP_4) | instskip(NEXT) | instid1(VALU_DEP_4)
	v_add_f64 v[6:7], v[10:11], v[6:7]
	v_fma_f64 v[192:193], v[108:109], s[20:21], v[82:83]
	v_mul_f64 v[10:11], v[130:131], s[28:29]
	v_mul_f64 v[130:131], v[130:131], s[26:27]
	s_delay_alu instid0(VALU_DEP_4) | instskip(NEXT) | instid1(VALU_DEP_4)
	v_add_f64 v[6:7], v[94:95], v[6:7]
	v_add_f64 v[86:87], v[192:193], v[86:87]
	s_delay_alu instid0(VALU_DEP_4) | instskip(SKIP_1) | instid1(VALU_DEP_2)
	v_fma_f64 v[192:193], v[128:129], s[22:23], v[10:11]
	v_mul_f64 v[94:95], v[153:154], s[42:43]
	v_add_f64 v[86:87], v[192:193], v[86:87]
	s_delay_alu instid0(VALU_DEP_2) | instskip(NEXT) | instid1(VALU_DEP_1)
	v_fma_f64 v[192:193], v[132:133], s[16:17], v[94:95]
	v_add_f64 v[86:87], v[192:193], v[86:87]
	v_fma_f64 v[192:193], v[149:150], s[2:3], -v[40:41]
	s_delay_alu instid0(VALU_DEP_1) | instskip(SKIP_1) | instid1(VALU_DEP_1)
	v_add_f64 v[194:195], v[192:193], v[6:7]
	v_mul_f64 v[6:7], v[146:147], s[38:39]
	v_fma_f64 v[192:193], v[144:145], s[2:3], v[6:7]
	v_fma_f64 v[6:7], v[144:145], s[2:3], -v[6:7]
	s_delay_alu instid0(VALU_DEP_2) | instskip(SKIP_1) | instid1(VALU_DEP_1)
	v_add_f64 v[192:193], v[192:193], v[86:87]
	v_mul_f64 v[86:87], v[157:158], s[30:31]
	v_fma_f64 v[196:197], v[102:103], s[0:1], -v[86:87]
	s_delay_alu instid0(VALU_DEP_1) | instskip(SKIP_2) | instid1(VALU_DEP_2)
	v_add_f64 v[196:197], v[196:197], v[247:248]
	v_mul_f64 v[247:248], v[155:156], s[30:31]
	v_mul_f64 v[155:156], v[155:156], s[46:47]
	v_fma_f64 v[198:199], v[104:105], s[0:1], v[247:248]
	s_delay_alu instid0(VALU_DEP_1) | instskip(SKIP_1) | instid1(VALU_DEP_1)
	v_add_f64 v[198:199], v[198:199], v[204:205]
	v_mul_f64 v[204:205], v[116:117], s[52:53]
	v_fma_f64 v[206:207], v[112:113], s[10:11], -v[204:205]
	s_delay_alu instid0(VALU_DEP_1) | instskip(SKIP_2) | instid1(VALU_DEP_2)
	v_add_f64 v[196:197], v[206:207], v[196:197]
	v_mul_f64 v[206:207], v[118:119], s[52:53]
	v_mul_f64 v[118:119], v[118:119], s[34:35]
	v_fma_f64 v[222:223], v[100:101], s[10:11], v[206:207]
	s_delay_alu instid0(VALU_DEP_1) | instskip(SKIP_2) | instid1(VALU_DEP_2)
	v_add_f64 v[198:199], v[222:223], v[198:199]
	v_mul_f64 v[222:223], v[122:123], s[40:41]
	v_mul_f64 v[122:123], v[122:123], s[36:37]
	v_fma_f64 v[159:160], v[120:121], s[22:23], -v[222:223]
	s_delay_alu instid0(VALU_DEP_1) | instskip(SKIP_1) | instid1(VALU_DEP_1)
	v_add_f64 v[159:160], v[159:160], v[196:197]
	v_fma_f64 v[196:197], v[110:111], s[22:23], v[218:219]
	v_add_f64 v[196:197], v[196:197], v[198:199]
	v_fma_f64 v[198:199], v[124:125], s[18:19], -v[60:61]
	s_delay_alu instid0(VALU_DEP_1) | instskip(SKIP_1) | instid1(VALU_DEP_1)
	v_add_f64 v[159:160], v[198:199], v[159:160]
	v_fma_f64 v[198:199], v[108:109], s[18:19], v[242:243]
	v_add_f64 v[196:197], v[198:199], v[196:197]
	v_fma_f64 v[198:199], v[134:135], s[2:3], -v[244:245]
	s_delay_alu instid0(VALU_DEP_2) | instskip(NEXT) | instid1(VALU_DEP_2)
	v_add_f64 v[46:47], v[46:47], v[196:197]
	v_add_f64 v[159:160], v[198:199], v[159:160]
	s_delay_alu instid0(VALU_DEP_1) | instskip(SKIP_1) | instid1(VALU_DEP_2)
	v_add_f64 v[50:51], v[50:51], v[159:160]
	v_mul_f64 v[159:160], v[153:154], s[50:51]
	v_add_f64 v[198:199], v[54:55], v[50:51]
	s_delay_alu instid0(VALU_DEP_2) | instskip(SKIP_2) | instid1(VALU_DEP_3)
	v_fma_f64 v[196:197], v[132:133], s[8:9], v[159:160]
	v_mul_f64 v[50:51], v[146:147], s[34:35]
	v_mul_f64 v[146:147], v[146:147], s[24:25]
	v_add_f64 v[46:47], v[196:197], v[46:47]
	s_delay_alu instid0(VALU_DEP_3) | instskip(SKIP_1) | instid1(VALU_DEP_2)
	v_fma_f64 v[54:55], v[144:145], s[20:21], v[50:51]
	v_fma_f64 v[50:51], v[144:145], s[20:21], -v[50:51]
	v_add_f64 v[196:197], v[54:55], v[46:47]
	v_mul_f64 v[46:47], v[157:158], s[46:47]
	v_fma_f64 v[157:158], v[104:105], s[2:3], v[155:156]
	s_delay_alu instid0(VALU_DEP_2) | instskip(NEXT) | instid1(VALU_DEP_2)
	v_fma_f64 v[54:55], v[102:103], s[2:3], -v[46:47]
	v_add_f64 v[157:158], v[157:158], v[202:203]
	v_mul_f64 v[202:203], v[140:141], s[26:27]
	scratch_load_b64 v[140:141], off, off offset:456 ; 8-byte Folded Reload
	v_fma_f64 v[46:47], v[102:103], s[2:3], v[46:47]
	v_add_f64 v[54:55], v[54:55], v[200:201]
	v_mul_f64 v[200:201], v[116:117], s[34:35]
	s_delay_alu instid0(VALU_DEP_1) | instskip(NEXT) | instid1(VALU_DEP_1)
	v_fma_f64 v[116:117], v[112:113], s[20:21], -v[200:201]
	v_add_f64 v[54:55], v[116:117], v[54:55]
	v_fma_f64 v[116:117], v[100:101], s[20:21], v[118:119]
	v_fma_f64 v[118:119], v[100:101], s[20:21], -v[118:119]
	s_delay_alu instid0(VALU_DEP_2) | instskip(SKIP_1) | instid1(VALU_DEP_1)
	v_add_f64 v[116:117], v[116:117], v[157:158]
	v_fma_f64 v[157:158], v[120:121], s[18:19], -v[122:123]
	v_add_f64 v[54:55], v[157:158], v[54:55]
	v_mul_f64 v[157:158], v[114:115], s[36:37]
	s_delay_alu instid0(VALU_DEP_1) | instskip(NEXT) | instid1(VALU_DEP_1)
	v_fma_f64 v[114:115], v[110:111], s[18:19], v[157:158]
	v_add_f64 v[114:115], v[114:115], v[116:117]
	v_fma_f64 v[116:117], v[124:125], s[0:1], -v[126:127]
	s_delay_alu instid0(VALU_DEP_1) | instskip(SKIP_1) | instid1(VALU_DEP_1)
	v_add_f64 v[54:55], v[116:117], v[54:55]
	v_fma_f64 v[116:117], v[108:109], s[0:1], v[142:143]
	v_add_f64 v[114:115], v[116:117], v[114:115]
	v_fma_f64 v[116:117], v[134:135], s[16:17], -v[202:203]
	s_delay_alu instid0(VALU_DEP_1) | instskip(SKIP_1) | instid1(VALU_DEP_2)
	v_add_f64 v[54:55], v[116:117], v[54:55]
	v_fma_f64 v[116:117], v[128:129], s[16:17], v[130:131]
	v_add_f64 v[54:55], v[58:59], v[54:55]
	v_mul_f64 v[58:59], v[153:154], s[28:29]
	s_delay_alu instid0(VALU_DEP_3) | instskip(SKIP_1) | instid1(VALU_DEP_3)
	v_add_f64 v[114:115], v[116:117], v[114:115]
	v_fma_f64 v[153:154], v[144:145], s[18:19], v[173:174]
	v_fma_f64 v[116:117], v[132:133], s[22:23], v[58:59]
	s_delay_alu instid0(VALU_DEP_1) | instskip(SKIP_1) | instid1(VALU_DEP_1)
	v_add_f64 v[114:115], v[116:117], v[114:115]
	v_fma_f64 v[116:117], v[149:150], s[8:9], -v[151:152]
	v_add_f64 v[116:117], v[116:117], v[54:55]
	v_fma_f64 v[54:55], v[144:145], s[8:9], v[146:147]
	s_delay_alu instid0(VALU_DEP_1) | instskip(SKIP_2) | instid1(VALU_DEP_1)
	v_add_f64 v[114:115], v[54:55], v[114:115]
	v_fma_f64 v[54:55], v[102:103], s[10:11], -v[208:209]
	s_waitcnt vmcnt(1)
	v_add_f64 v[54:55], v[54:55], v[138:139]
	v_fma_f64 v[138:139], v[104:105], s[10:11], v[210:211]
	s_waitcnt vmcnt(0)
	s_delay_alu instid0(VALU_DEP_1) | instskip(SKIP_1) | instid1(VALU_DEP_1)
	v_add_f64 v[138:139], v[138:139], v[140:141]
	v_fma_f64 v[140:141], v[112:113], s[22:23], -v[212:213]
	v_add_f64 v[54:55], v[140:141], v[54:55]
	v_fma_f64 v[140:141], v[100:101], s[22:23], v[214:215]
	s_delay_alu instid0(VALU_DEP_1) | instskip(SKIP_1) | instid1(VALU_DEP_1)
	v_add_f64 v[138:139], v[140:141], v[138:139]
	v_fma_f64 v[140:141], v[120:121], s[2:3], -v[224:225]
	v_add_f64 v[54:55], v[140:141], v[54:55]
	v_fma_f64 v[140:141], v[110:111], s[2:3], v[226:227]
	;; [unrolled: 5-line block ×3, first 2 shown]
	s_delay_alu instid0(VALU_DEP_1)
	v_add_f64 v[138:139], v[140:141], v[138:139]
	v_fma_f64 v[140:141], v[134:135], s[20:21], -v[240:241]
	s_clause 0x1
	scratch_load_b32 v240, off, off offset:316
	scratch_load_b32 v241, off, off offset:308
	v_add_f64 v[54:55], v[140:141], v[54:55]
	v_fma_f64 v[140:141], v[128:129], s[20:21], v[249:250]
	v_mov_b32_e32 v249, v16
	s_delay_alu instid0(VALU_DEP_2) | instskip(SKIP_1) | instid1(VALU_DEP_1)
	v_add_f64 v[138:139], v[140:141], v[138:139]
	v_fma_f64 v[140:141], v[136:137], s[0:1], -v[251:252]
	v_add_f64 v[54:55], v[140:141], v[54:55]
	v_fma_f64 v[140:141], v[132:133], s[0:1], v[253:254]
	s_delay_alu instid0(VALU_DEP_1) | instskip(SKIP_1) | instid1(VALU_DEP_2)
	v_add_f64 v[138:139], v[140:141], v[138:139]
	v_fma_f64 v[140:141], v[149:150], s[18:19], -v[171:172]
	v_add_f64 v[138:139], v[153:154], v[138:139]
	s_delay_alu instid0(VALU_DEP_2)
	v_add_f64 v[140:141], v[140:141], v[54:55]
	s_clause 0x1
	scratch_load_b64 v[54:55], off, off offset:448
	scratch_load_b64 v[153:154], off, off offset:440
	s_waitcnt vmcnt(1)
	v_add_f64 v[46:47], v[46:47], v[54:55]
	v_fma_f64 v[54:55], v[104:105], s[2:3], -v[155:156]
	s_waitcnt vmcnt(0)
	s_delay_alu instid0(VALU_DEP_1) | instskip(SKIP_1) | instid1(VALU_DEP_2)
	v_add_f64 v[54:55], v[54:55], v[153:154]
	v_fma_f64 v[153:154], v[112:113], s[20:21], v[200:201]
	v_add_f64 v[54:55], v[118:119], v[54:55]
	s_delay_alu instid0(VALU_DEP_2) | instskip(SKIP_1) | instid1(VALU_DEP_1)
	v_add_f64 v[46:47], v[153:154], v[46:47]
	v_fma_f64 v[118:119], v[120:121], s[18:19], v[122:123]
	v_add_f64 v[46:47], v[118:119], v[46:47]
	v_fma_f64 v[118:119], v[110:111], s[18:19], -v[157:158]
	s_delay_alu instid0(VALU_DEP_1) | instskip(SKIP_1) | instid1(VALU_DEP_1)
	v_add_f64 v[54:55], v[118:119], v[54:55]
	v_fma_f64 v[118:119], v[124:125], s[0:1], v[126:127]
	v_add_f64 v[46:47], v[118:119], v[46:47]
	v_fma_f64 v[118:119], v[108:109], s[0:1], -v[142:143]
	s_delay_alu instid0(VALU_DEP_1) | instskip(SKIP_1) | instid1(VALU_DEP_1)
	v_add_f64 v[54:55], v[118:119], v[54:55]
	v_fma_f64 v[118:119], v[134:135], s[16:17], v[202:203]
	v_add_f64 v[46:47], v[118:119], v[46:47]
	v_fma_f64 v[118:119], v[128:129], s[16:17], -v[130:131]
	s_delay_alu instid0(VALU_DEP_2) | instskip(NEXT) | instid1(VALU_DEP_2)
	v_add_f64 v[46:47], v[56:57], v[46:47]
	v_add_f64 v[54:55], v[118:119], v[54:55]
	v_fma_f64 v[56:57], v[132:133], s[22:23], -v[58:59]
	v_fma_f64 v[58:59], v[144:145], s[8:9], -v[146:147]
	s_delay_alu instid0(VALU_DEP_2) | instskip(SKIP_1) | instid1(VALU_DEP_2)
	v_add_f64 v[54:55], v[56:57], v[54:55]
	v_fma_f64 v[56:57], v[149:150], s[8:9], v[151:152]
	v_add_f64 v[151:152], v[58:59], v[54:55]
	scratch_load_b64 v[54:55], off, off offset:432 ; 8-byte Folded Reload
	v_add_f64 v[153:154], v[56:57], v[46:47]
	scratch_load_b64 v[56:57], off, off offset:424 ; 8-byte Folded Reload
	v_fma_f64 v[46:47], v[102:103], s[0:1], v[86:87]
	s_waitcnt vmcnt(1)
	s_delay_alu instid0(VALU_DEP_1) | instskip(SKIP_1) | instid1(VALU_DEP_1)
	v_add_f64 v[46:47], v[46:47], v[54:55]
	v_fma_f64 v[54:55], v[112:113], s[10:11], v[204:205]
	v_add_f64 v[46:47], v[54:55], v[46:47]
	v_fma_f64 v[54:55], v[120:121], s[22:23], v[222:223]
	s_delay_alu instid0(VALU_DEP_1) | instskip(SKIP_1) | instid1(VALU_DEP_1)
	v_add_f64 v[46:47], v[54:55], v[46:47]
	v_fma_f64 v[54:55], v[124:125], s[18:19], v[60:61]
	v_add_f64 v[46:47], v[54:55], v[46:47]
	v_fma_f64 v[54:55], v[134:135], s[2:3], v[244:245]
	s_delay_alu instid0(VALU_DEP_1) | instskip(SKIP_1) | instid1(VALU_DEP_2)
	v_add_f64 v[46:47], v[54:55], v[46:47]
	v_fma_f64 v[54:55], v[104:105], s[0:1], -v[247:248]
	v_add_f64 v[46:47], v[48:49], v[46:47]
	s_waitcnt vmcnt(0)
	s_delay_alu instid0(VALU_DEP_2) | instskip(SKIP_2) | instid1(VALU_DEP_2)
	v_add_f64 v[54:55], v[54:55], v[56:57]
	v_fma_f64 v[56:57], v[100:101], s[10:11], -v[206:207]
	v_fma_f64 v[48:49], v[132:133], s[8:9], -v[159:160]
	v_add_f64 v[54:55], v[56:57], v[54:55]
	v_fma_f64 v[56:57], v[110:111], s[22:23], -v[218:219]
	s_delay_alu instid0(VALU_DEP_1)
	v_add_f64 v[54:55], v[56:57], v[54:55]
	v_fma_f64 v[56:57], v[108:109], s[18:19], -v[242:243]
	v_mov_b32_e32 v243, v170
	v_dual_mov_b32 v245, v246 :: v_dual_mov_b32 v246, v148
	v_mov_b32_e32 v148, v13
	v_mov_b32_e32 v170, v12
	scratch_load_b64 v[12:13], off, off offset:416 ; 8-byte Folded Reload
	v_mov_b32_e32 v242, v175
	v_add_f64 v[54:55], v[56:57], v[54:55]
	s_delay_alu instid0(VALU_DEP_1) | instskip(NEXT) | instid1(VALU_DEP_1)
	v_add_f64 v[44:45], v[44:45], v[54:55]
	v_add_f64 v[44:45], v[48:49], v[44:45]
	v_fma_f64 v[48:49], v[149:150], s[20:21], v[52:53]
	s_delay_alu instid0(VALU_DEP_2) | instskip(NEXT) | instid1(VALU_DEP_2)
	v_add_f64 v[155:156], v[50:51], v[44:45]
	v_add_f64 v[157:158], v[48:49], v[46:47]
	v_fma_f64 v[44:45], v[104:105], s[8:9], -v[84:85]
	v_fma_f64 v[46:47], v[112:113], s[0:1], v[220:221]
	s_waitcnt vmcnt(0)
	v_add_f64 v[34:35], v[34:35], v[12:13]
	scratch_load_b64 v[12:13], off, off offset:408 ; 8-byte Folded Reload
	v_add_f64 v[34:35], v[46:47], v[34:35]
	v_fma_f64 v[46:47], v[100:101], s[0:1], -v[88:89]
	s_waitcnt vmcnt(0)
	v_add_f64 v[44:45], v[44:45], v[12:13]
	s_delay_alu instid0(VALU_DEP_1) | instskip(SKIP_1) | instid1(VALU_DEP_2)
	v_add_f64 v[44:45], v[46:47], v[44:45]
	v_fma_f64 v[46:47], v[120:121], s[10:11], v[90:91]
	v_add_f64 v[8:9], v[8:9], v[44:45]
	s_delay_alu instid0(VALU_DEP_2) | instskip(NEXT) | instid1(VALU_DEP_1)
	v_add_f64 v[34:35], v[46:47], v[34:35]
	v_add_f64 v[4:5], v[4:5], v[34:35]
	v_fma_f64 v[34:35], v[108:109], s[20:21], -v[82:83]
	s_delay_alu instid0(VALU_DEP_2) | instskip(NEXT) | instid1(VALU_DEP_2)
	v_add_f64 v[2:3], v[2:3], v[4:5]
	v_add_f64 v[8:9], v[34:35], v[8:9]
	v_fma_f64 v[4:5], v[128:129], s[22:23], -v[10:11]
	s_delay_alu instid0(VALU_DEP_3) | instskip(SKIP_1) | instid1(VALU_DEP_3)
	v_add_f64 v[0:1], v[0:1], v[2:3]
	v_fma_f64 v[2:3], v[132:133], s[16:17], -v[94:95]
	v_add_f64 v[4:5], v[4:5], v[8:9]
	s_delay_alu instid0(VALU_DEP_1) | instskip(SKIP_1) | instid1(VALU_DEP_2)
	v_add_f64 v[2:3], v[2:3], v[4:5]
	v_fma_f64 v[4:5], v[149:150], s[2:3], v[40:41]
	v_add_f64 v[200:201], v[6:7], v[2:3]
	scratch_load_b64 v[2:3], off, off offset:400 ; 8-byte Folded Reload
	v_add_f64 v[202:203], v[4:5], v[0:1]
	scratch_load_b64 v[4:5], off, off offset:392 ; 8-byte Folded Reload
	v_fma_f64 v[0:1], v[102:103], s[16:17], v[18:19]
	v_fma_f64 v[6:7], v[144:145], s[22:23], -v[30:31]
	s_waitcnt vmcnt(1)
	s_delay_alu instid0(VALU_DEP_2) | instskip(SKIP_2) | instid1(VALU_DEP_1)
	v_add_f64 v[0:1], v[0:1], v[2:3]
	v_fma_f64 v[2:3], v[104:105], s[16:17], -v[32:33]
	s_waitcnt vmcnt(0)
	v_add_f64 v[2:3], v[2:3], v[4:5]
	v_fma_f64 v[4:5], v[112:113], s[8:9], v[36:37]
	s_delay_alu instid0(VALU_DEP_1) | instskip(SKIP_1) | instid1(VALU_DEP_1)
	v_add_f64 v[0:1], v[4:5], v[0:1]
	v_fma_f64 v[4:5], v[100:101], s[8:9], -v[38:39]
	v_add_f64 v[2:3], v[4:5], v[2:3]
	v_fma_f64 v[4:5], v[120:121], s[0:1], v[64:65]
	s_delay_alu instid0(VALU_DEP_1) | instskip(SKIP_1) | instid1(VALU_DEP_1)
	v_add_f64 v[0:1], v[4:5], v[0:1]
	v_fma_f64 v[4:5], v[110:111], s[0:1], -v[66:67]
	;; [unrolled: 5-line block ×5, first 2 shown]
	v_add_f64 v[2:3], v[4:5], v[2:3]
	v_fma_f64 v[4:5], v[149:150], s[22:23], v[80:81]
	s_delay_alu instid0(VALU_DEP_2)
	v_add_f64 v[204:205], v[6:7], v[2:3]
	scratch_load_b64 v[6:7], off, off offset:384 ; 8-byte Folded Reload
	v_add_f64 v[206:207], v[4:5], v[0:1]
	v_fma_f64 v[0:1], v[102:103], s[20:21], v[216:217]
	v_fma_f64 v[2:3], v[104:105], s[20:21], -v[106:107]
	v_fma_f64 v[4:5], v[112:113], s[18:19], v[98:99]
	s_waitcnt vmcnt(0)
	s_delay_alu instid0(VALU_DEP_3)
	v_add_f64 v[0:1], v[0:1], v[6:7]
	v_fma_f64 v[6:7], v[100:101], s[18:19], -v[168:169]
	s_clause 0x1
	scratch_load_b32 v168, off, off offset:320
	scratch_load_b64 v[8:9], off, off offset:376
	v_mov_b32_e32 v169, v162
	v_add_f64 v[0:1], v[4:5], v[0:1]
	v_fma_f64 v[4:5], v[110:111], s[16:17], -v[92:93]
	s_waitcnt vmcnt(0)
	v_add_f64 v[2:3], v[2:3], v[8:9]
	v_fma_f64 v[8:9], v[120:121], s[16:17], v[96:97]
	s_delay_alu instid0(VALU_DEP_2) | instskip(SKIP_1) | instid1(VALU_DEP_3)
	v_add_f64 v[2:3], v[6:7], v[2:3]
	v_fma_f64 v[6:7], v[124:125], s[10:11], v[42:43]
	v_add_f64 v[0:1], v[8:9], v[0:1]
	v_fma_f64 v[8:9], v[108:109], s[10:11], -v[62:63]
	s_delay_alu instid0(VALU_DEP_4) | instskip(SKIP_1) | instid1(VALU_DEP_4)
	v_add_f64 v[2:3], v[4:5], v[2:3]
	v_fma_f64 v[4:5], v[134:135], s[8:9], v[20:21]
	v_add_f64 v[0:1], v[6:7], v[0:1]
	v_fma_f64 v[6:7], v[128:129], s[8:9], -v[22:23]
	s_delay_alu instid0(VALU_DEP_4) | instskip(SKIP_1) | instid1(VALU_DEP_4)
	v_add_f64 v[2:3], v[8:9], v[2:3]
	v_fma_f64 v[8:9], v[136:137], s[2:3], v[24:25]
	v_add_f64 v[0:1], v[4:5], v[0:1]
	v_fma_f64 v[4:5], v[132:133], s[2:3], -v[26:27]
	s_delay_alu instid0(VALU_DEP_4) | instskip(SKIP_1) | instid1(VALU_DEP_4)
	v_add_f64 v[2:3], v[6:7], v[2:3]
	v_fma_f64 v[6:7], v[149:150], s[0:1], v[28:29]
	v_add_f64 v[0:1], v[8:9], v[0:1]
	v_fma_f64 v[8:9], v[144:145], s[0:1], -v[14:15]
	s_clause 0x1
	scratch_load_b32 v150, off, off offset:328
	scratch_load_b32 v149, off, off offset:324
	v_add_f64 v[2:3], v[4:5], v[2:3]
	v_add_f64 v[98:99], v[6:7], v[0:1]
	v_mul_lo_u16 v0, v246, 17
	s_delay_alu instid0(VALU_DEP_1) | instskip(NEXT) | instid1(VALU_DEP_1)
	v_and_b32_e32 v0, 0xffff, v0
	v_lshl_add_u32 v0, v0, 4, v255
	v_mov_b32_e32 v255, v17
	v_add_f64 v[96:97], v[8:9], v[2:3]
	scratch_load_b128 v[1:4], off, off offset:344 ; 16-byte Folded Reload
	s_waitcnt vmcnt(0)
	ds_store_b128 v0, v[1:4]
	ds_store_b128 v0, v[184:187] offset:16
	ds_store_b128 v0, v[188:191] offset:32
	;; [unrolled: 1-line block ×8, first 2 shown]
	s_clause 0x1
	scratch_load_b32 v239, off, off offset:312
	scratch_load_b128 v[1:4], off, off offset:360
	s_waitcnt vmcnt(0)
	ds_store_b128 v0, v[1:4] offset:144
	ds_store_b128 v0, v[232:235] offset:160
	;; [unrolled: 1-line block ×4, first 2 shown]
	s_clause 0x2
	scratch_load_b32 v153, off, off offset:340
	scratch_load_b32 v152, off, off offset:336
	;; [unrolled: 1-line block ×3, first 2 shown]
	ds_store_b128 v0, v[155:158] offset:208
	ds_store_b128 v0, v[200:203] offset:224
	;; [unrolled: 1-line block ×4, first 2 shown]
.LBB0_13:
	s_or_b32 exec_lo, exec_lo, s33
	s_waitcnt vmcnt(0) lgkmcnt(0)
	s_waitcnt_vscnt null, 0x0
	s_barrier
	buffer_gl0_inv
	ds_load_b128 v[0:3], v161 offset:3808
	ds_load_b128 v[4:7], v161 offset:4352
	;; [unrolled: 1-line block ×8, first 2 shown]
	s_clause 0x4
	scratch_load_b128 v[42:45], off, off
	scratch_load_b128 v[54:57], off, off offset:64
	scratch_load_b128 v[58:61], off, off offset:80
	;; [unrolled: 1-line block ×4, first 2 shown]
	s_mov_b32 s0, 0x37e14327
	s_mov_b32 s2, 0x36b3c0b5
	s_mov_b32 s8, 0xe976ee23
	s_mov_b32 s1, 0x3fe948f6
	s_mov_b32 s3, 0x3fac98ee
	s_mov_b32 s9, 0x3fe11646
	s_mov_b32 s10, 0x429ad128
	s_mov_b32 s11, 0xbfebfeb5
	s_waitcnt lgkmcnt(6)
	v_mul_f64 v[16:17], v[166:167], v[6:7]
	v_mul_f64 v[18:19], v[166:167], v[4:5]
	s_mov_b32 s16, 0xaaaaaaaa
	s_mov_b32 s18, 0xb247c609
	;; [unrolled: 1-line block ×6, first 2 shown]
	s_delay_alu instid0(VALU_DEP_1)
	v_fma_f64 v[46:47], v[164:165], v[6:7], -v[18:19]
	s_waitcnt vmcnt(3) lgkmcnt(4)
	v_mul_f64 v[24:25], v[56:57], v[94:95]
	s_waitcnt vmcnt(2) lgkmcnt(3)
	v_mul_f64 v[28:29], v[60:61], v[98:99]
	v_mul_f64 v[30:31], v[60:61], v[96:97]
	scratch_load_b128 v[60:63], off, off offset:16 ; 16-byte Folded Reload
	v_mul_f64 v[12:13], v[44:45], v[2:3]
	v_mul_f64 v[14:15], v[44:45], v[0:1]
	s_waitcnt vmcnt(2)
	v_mul_f64 v[20:21], v[52:53], v[10:11]
	v_mul_f64 v[22:23], v[52:53], v[8:9]
	;; [unrolled: 1-line block ×3, first 2 shown]
	v_fma_f64 v[44:45], v[164:165], v[4:5], v[16:17]
	s_waitcnt vmcnt(1) lgkmcnt(2)
	v_mul_f64 v[32:33], v[68:69], v[102:103]
	v_mul_f64 v[34:35], v[68:69], v[100:101]
	v_fma_f64 v[52:53], v[54:55], v[92:93], v[24:25]
	v_fma_f64 v[56:57], v[58:59], v[96:97], v[28:29]
	v_fma_f64 v[58:59], v[58:59], v[98:99], -v[30:31]
	v_fma_f64 v[40:41], v[42:43], v[0:1], v[12:13]
	v_fma_f64 v[42:43], v[42:43], v[2:3], -v[14:15]
	;; [unrolled: 2-line block ×3, first 2 shown]
	ds_load_b128 v[0:3], v161
	ds_load_b128 v[4:7], v161 offset:544
	ds_load_b128 v[8:11], v161 offset:1088
	;; [unrolled: 1-line block ×5, first 2 shown]
	v_fma_f64 v[54:55], v[54:55], v[94:95], -v[26:27]
	s_waitcnt vmcnt(0) lgkmcnt(0)
	s_barrier
	buffer_gl0_inv
	v_fma_f64 v[64:65], v[66:67], v[100:101], v[32:33]
	v_fma_f64 v[66:67], v[66:67], v[102:103], -v[34:35]
	v_add_f64 v[28:29], v[4:5], -v[44:45]
	v_add_f64 v[30:31], v[6:7], -v[46:47]
	;; [unrolled: 1-line block ×10, first 2 shown]
	v_fma_f64 v[4:5], v[4:5], 2.0, -v[28:29]
	v_fma_f64 v[6:7], v[6:7], 2.0, -v[30:31]
	;; [unrolled: 1-line block ×8, first 2 shown]
	ds_store_b128 v239, v[0:3]
	ds_store_b128 v239, v[24:27] offset:272
	scratch_load_b32 v0, off, off offset:304 ; 4-byte Folded Reload
	v_fma_f64 v[20:21], v[20:21], 2.0, -v[96:97]
	v_fma_f64 v[22:23], v[22:23], 2.0, -v[98:99]
	v_mul_f64 v[36:37], v[62:63], v[106:107]
	v_mul_f64 v[38:39], v[62:63], v[104:105]
	s_delay_alu instid0(VALU_DEP_2) | instskip(NEXT) | instid1(VALU_DEP_2)
	v_fma_f64 v[68:69], v[60:61], v[104:105], v[36:37]
	v_fma_f64 v[70:71], v[60:61], v[106:107], -v[38:39]
	v_add_f64 v[36:37], v[12:13], -v[52:53]
	v_add_f64 v[38:39], v[14:15], -v[54:55]
	s_delay_alu instid0(VALU_DEP_4) | instskip(NEXT) | instid1(VALU_DEP_4)
	v_add_f64 v[100:101], v[108:109], -v[68:69]
	v_add_f64 v[102:103], v[110:111], -v[70:71]
	s_delay_alu instid0(VALU_DEP_4) | instskip(NEXT) | instid1(VALU_DEP_4)
	v_fma_f64 v[12:13], v[12:13], 2.0, -v[36:37]
	v_fma_f64 v[14:15], v[14:15], 2.0, -v[38:39]
	s_delay_alu instid0(VALU_DEP_4) | instskip(NEXT) | instid1(VALU_DEP_4)
	v_fma_f64 v[104:105], v[108:109], 2.0, -v[100:101]
	v_fma_f64 v[106:107], v[110:111], 2.0, -v[102:103]
	s_waitcnt vmcnt(0)
	ds_store_b128 v0, v[4:7]
	ds_store_b128 v0, v[28:31] offset:272
	ds_store_b128 v255, v[8:11]
	ds_store_b128 v255, v[32:35] offset:272
	;; [unrolled: 2-line block ×6, first 2 shown]
	s_waitcnt lgkmcnt(0)
	s_barrier
	buffer_gl0_inv
	ds_load_b128 v[0:3], v161 offset:1088
	ds_load_b128 v[4:7], v161 offset:2176
	;; [unrolled: 1-line block ×8, first 2 shown]
	s_clause 0x3
	scratch_load_b128 v[82:85], off, off offset:112
	scratch_load_b128 v[60:63], off, off offset:96
	;; [unrolled: 1-line block ×4, first 2 shown]
	ds_load_b128 v[32:35], v161 offset:4352
	ds_load_b128 v[36:39], v161 offset:3264
	ds_load_b128 v[92:95], v161 offset:3808
	ds_load_b128 v[96:99], v161 offset:4896
	scratch_load_b128 v[88:91], off, off offset:144 ; 16-byte Folded Reload
	s_waitcnt vmcnt(4) lgkmcnt(11)
	v_mul_f64 v[40:41], v[84:85], v[2:3]
	v_mul_f64 v[42:43], v[84:85], v[0:1]
	s_waitcnt lgkmcnt(7)
	v_mul_f64 v[56:57], v[84:85], v[18:19]
	v_mul_f64 v[58:59], v[84:85], v[16:17]
	scratch_load_b128 v[84:87], off, off offset:128 ; 16-byte Folded Reload
	s_waitcnt vmcnt(4)
	v_mul_f64 v[44:45], v[62:63], v[6:7]
	v_mul_f64 v[46:47], v[62:63], v[4:5]
	s_waitcnt vmcnt(3)
	v_mul_f64 v[48:49], v[102:103], v[10:11]
	v_mul_f64 v[50:51], v[102:103], v[8:9]
	;; [unrolled: 3-line block ×3, first 2 shown]
	s_waitcnt lgkmcnt(6)
	v_mul_f64 v[64:65], v[62:63], v[22:23]
	v_mul_f64 v[66:67], v[62:63], v[20:21]
	s_waitcnt lgkmcnt(5)
	v_mul_f64 v[68:69], v[102:103], v[26:27]
	v_mul_f64 v[70:71], v[102:103], v[24:25]
	;; [unrolled: 3-line block ×3, first 2 shown]
	s_waitcnt vmcnt(1) lgkmcnt(2)
	v_mul_f64 v[74:75], v[90:91], v[38:39]
	v_mul_f64 v[76:77], v[90:91], v[36:37]
	v_fma_f64 v[0:1], v[82:83], v[0:1], v[40:41]
	v_fma_f64 v[2:3], v[82:83], v[2:3], -v[42:43]
	s_waitcnt lgkmcnt(1)
	v_mul_f64 v[40:41], v[90:91], v[94:95]
	v_mul_f64 v[42:43], v[90:91], v[92:93]
	v_fma_f64 v[16:17], v[82:83], v[16:17], v[56:57]
	v_fma_f64 v[4:5], v[60:61], v[4:5], v[44:45]
	v_fma_f64 v[6:7], v[60:61], v[6:7], -v[46:47]
	v_fma_f64 v[8:9], v[100:101], v[8:9], v[48:49]
	v_fma_f64 v[10:11], v[100:101], v[10:11], -v[50:51]
	v_fma_f64 v[12:13], v[104:105], v[12:13], v[52:53]
	v_fma_f64 v[14:15], v[104:105], v[14:15], -v[54:55]
	v_fma_f64 v[18:19], v[82:83], v[18:19], -v[58:59]
	v_fma_f64 v[20:21], v[60:61], v[20:21], v[64:65]
	v_fma_f64 v[22:23], v[60:61], v[22:23], -v[66:67]
	v_fma_f64 v[24:25], v[100:101], v[24:25], v[68:69]
	;; [unrolled: 2-line block ×5, first 2 shown]
	v_fma_f64 v[42:43], v[88:89], v[94:95], -v[42:43]
	v_add_f64 v[48:49], v[0:1], v[8:9]
	v_add_f64 v[50:51], v[2:3], v[10:11]
	;; [unrolled: 1-line block ×4, first 2 shown]
	v_add_f64 v[12:13], v[4:5], -v[12:13]
	v_add_f64 v[14:15], v[6:7], -v[14:15]
	;; [unrolled: 1-line block ×3, first 2 shown]
	v_add_f64 v[56:57], v[16:17], v[24:25]
	v_add_f64 v[58:59], v[18:19], v[26:27]
	;; [unrolled: 1-line block ×4, first 2 shown]
	v_add_f64 v[10:11], v[2:3], -v[10:11]
	v_add_f64 v[20:21], v[20:21], -v[28:29]
	;; [unrolled: 1-line block ×5, first 2 shown]
	v_add_f64 v[0:1], v[52:53], v[48:49]
	v_add_f64 v[2:3], v[54:55], v[50:51]
	v_add_f64 v[68:69], v[12:13], -v[8:9]
	v_add_f64 v[24:25], v[60:61], v[56:57]
	v_add_f64 v[26:27], v[62:63], v[58:59]
	v_add_f64 v[70:71], v[14:15], -v[10:11]
	v_add_f64 v[82:83], v[22:23], -v[18:19]
	v_mul_f64 v[88:89], v[68:69], s[10:11]
	s_delay_alu instid0(VALU_DEP_3) | instskip(NEXT) | instid1(VALU_DEP_3)
	v_mul_f64 v[90:91], v[70:71], s[10:11]
	v_mul_f64 v[94:95], v[82:83], s[10:11]
	s_waitcnt vmcnt(0)
	v_mul_f64 v[78:79], v[86:87], v[34:35]
	v_mul_f64 v[80:81], v[86:87], v[32:33]
	s_waitcnt lgkmcnt(0)
	v_mul_f64 v[44:45], v[86:87], v[98:99]
	v_mul_f64 v[46:47], v[86:87], v[96:97]
	s_delay_alu instid0(VALU_DEP_4) | instskip(NEXT) | instid1(VALU_DEP_4)
	v_fma_f64 v[32:33], v[84:85], v[32:33], v[78:79]
	v_fma_f64 v[34:35], v[84:85], v[34:35], -v[80:81]
	s_delay_alu instid0(VALU_DEP_4) | instskip(NEXT) | instid1(VALU_DEP_4)
	v_fma_f64 v[44:45], v[84:85], v[96:97], v[44:45]
	v_fma_f64 v[46:47], v[84:85], v[98:99], -v[46:47]
	v_add_f64 v[80:81], v[20:21], -v[16:17]
	v_add_f64 v[64:65], v[36:37], v[32:33]
	v_add_f64 v[66:67], v[38:39], v[34:35]
	v_add_f64 v[32:33], v[32:33], -v[36:37]
	v_add_f64 v[34:35], v[34:35], -v[38:39]
	v_add_f64 v[4:5], v[40:41], v[44:45]
	v_add_f64 v[6:7], v[42:43], v[46:47]
	v_add_f64 v[28:29], v[44:45], -v[40:41]
	v_add_f64 v[30:31], v[46:47], -v[42:43]
	v_mul_f64 v[92:93], v[80:81], s[10:11]
	v_add_f64 v[36:37], v[48:49], -v[64:65]
	v_add_f64 v[38:39], v[50:51], -v[66:67]
	;; [unrolled: 1-line block ×6, first 2 shown]
	v_add_f64 v[64:65], v[64:65], v[0:1]
	v_add_f64 v[66:67], v[66:67], v[2:3]
	v_add_f64 v[72:73], v[56:57], -v[4:5]
	v_add_f64 v[74:75], v[58:59], -v[6:7]
	;; [unrolled: 1-line block ×4, first 2 shown]
	v_add_f64 v[24:25], v[4:5], v[24:25]
	v_add_f64 v[26:27], v[6:7], v[26:27]
	v_add_f64 v[84:85], v[4:5], -v[60:61]
	v_add_f64 v[86:87], v[6:7], -v[62:63]
	ds_load_b128 v[0:3], v161
	ds_load_b128 v[4:7], v161 offset:544
	v_add_f64 v[48:49], v[52:53], -v[48:49]
	v_add_f64 v[50:51], v[54:55], -v[50:51]
	v_add_f64 v[12:13], v[32:33], v[12:13]
	v_add_f64 v[14:15], v[34:35], v[14:15]
	v_add_f64 v[32:33], v[8:9], -v[32:33]
	v_add_f64 v[34:35], v[10:11], -v[34:35]
	v_add_f64 v[20:21], v[28:29], v[20:21]
	v_add_f64 v[22:23], v[30:31], v[22:23]
	v_add_f64 v[28:29], v[16:17], -v[28:29]
	v_add_f64 v[30:31], v[18:19], -v[30:31]
	;; [unrolled: 1-line block ×4, first 2 shown]
	s_waitcnt lgkmcnt(0)
	s_barrier
	buffer_gl0_inv
	v_mul_f64 v[36:37], v[36:37], s[0:1]
	v_mul_f64 v[38:39], v[38:39], s[0:1]
	;; [unrolled: 1-line block ×6, first 2 shown]
	v_add_f64 v[0:1], v[0:1], v[64:65]
	v_add_f64 v[2:3], v[2:3], v[66:67]
	v_mul_f64 v[72:73], v[72:73], s[0:1]
	v_mul_f64 v[74:75], v[74:75], s[0:1]
	;; [unrolled: 1-line block ×4, first 2 shown]
	v_add_f64 v[4:5], v[4:5], v[24:25]
	v_add_f64 v[6:7], v[6:7], v[26:27]
	v_mul_f64 v[60:61], v[84:85], s[2:3]
	v_mul_f64 v[62:63], v[86:87], s[2:3]
	s_mov_b32 s0, 0x5476071b
	s_mov_b32 s1, 0x3fe77f67
	;; [unrolled: 1-line block ×4, first 2 shown]
	v_add_f64 v[8:9], v[12:13], v[8:9]
	v_add_f64 v[10:11], v[14:15], v[10:11]
	;; [unrolled: 1-line block ×4, first 2 shown]
	v_fma_f64 v[16:17], v[40:41], s[2:3], v[36:37]
	v_fma_f64 v[18:19], v[42:43], s[2:3], v[38:39]
	v_fma_f64 v[20:21], v[48:49], s[0:1], -v[52:53]
	v_fma_f64 v[22:23], v[50:51], s[0:1], -v[54:55]
	v_fma_f64 v[40:41], v[32:33], s[18:19], v[44:45]
	v_fma_f64 v[42:43], v[34:35], s[18:19], v[46:47]
	;; [unrolled: 1-line block ×4, first 2 shown]
	v_fma_f64 v[32:33], v[32:33], s[20:21], -v[88:89]
	v_fma_f64 v[34:35], v[34:35], s[20:21], -v[90:91]
	;; [unrolled: 1-line block ×6, first 2 shown]
	v_fma_f64 v[48:49], v[84:85], s[2:3], v[72:73]
	v_fma_f64 v[50:51], v[86:87], s[2:3], v[74:75]
	;; [unrolled: 1-line block ×6, first 2 shown]
	v_fma_f64 v[68:69], v[80:81], s[10:11], -v[76:77]
	v_fma_f64 v[70:71], v[82:83], s[10:11], -v[78:79]
	;; [unrolled: 1-line block ×8, first 2 shown]
	s_mov_b32 s0, 0x37c3f68c
	s_mov_b32 s1, 0xbfdc38aa
	s_delay_alu instid0(SALU_CYCLE_1)
	v_fma_f64 v[40:41], v[8:9], s[0:1], v[40:41]
	v_fma_f64 v[42:43], v[10:11], s[0:1], v[42:43]
	v_add_f64 v[60:61], v[16:17], v[52:53]
	v_add_f64 v[62:63], v[18:19], v[54:55]
	v_fma_f64 v[32:33], v[8:9], s[0:1], v[32:33]
	v_fma_f64 v[34:35], v[10:11], s[0:1], v[34:35]
	v_add_f64 v[36:37], v[36:37], v[52:53]
	v_add_f64 v[38:39], v[38:39], v[54:55]
	;; [unrolled: 4-line block ×4, first 2 shown]
	v_fma_f64 v[64:65], v[12:13], s[0:1], v[68:69]
	v_fma_f64 v[66:67], v[14:15], s[0:1], v[70:71]
	v_fma_f64 v[68:69], v[12:13], s[0:1], v[28:29]
	v_fma_f64 v[70:71], v[14:15], s[0:1], v[30:31]
	v_add_f64 v[48:49], v[72:73], v[24:25]
	v_add_f64 v[50:51], v[74:75], v[26:27]
	;; [unrolled: 1-line block ×5, first 2 shown]
	v_add_f64 v[10:11], v[62:63], -v[40:41]
	v_add_f64 v[28:29], v[60:61], -v[42:43]
	v_add_f64 v[30:31], v[40:41], v[62:63]
	v_add_f64 v[12:13], v[34:35], v[36:37]
	v_add_f64 v[14:15], v[38:39], -v[32:33]
	v_add_f64 v[24:25], v[36:37], -v[34:35]
	v_add_f64 v[26:27], v[32:33], v[38:39]
	v_add_f64 v[16:17], v[20:21], -v[46:47]
	v_add_f64 v[18:19], v[44:45], v[22:23]
	v_add_f64 v[20:21], v[46:47], v[20:21]
	v_add_f64 v[22:23], v[22:23], -v[44:45]
	v_add_f64 v[32:33], v[52:53], v[76:77]
	v_add_f64 v[34:35], v[78:79], -v[54:55]
	v_add_f64 v[52:53], v[76:77], -v[52:53]
	v_add_f64 v[54:55], v[54:55], v[78:79]
	v_add_f64 v[36:37], v[70:71], v[48:49]
	v_add_f64 v[38:39], v[50:51], -v[68:69]
	v_add_f64 v[40:41], v[56:57], -v[66:67]
	v_add_f64 v[42:43], v[64:65], v[58:59]
	;; [unrolled: 4-line block ×3, first 2 shown]
	ds_store_b128 v161, v[0:3]
	ds_store_b128 v161, v[8:11] offset:544
	ds_store_b128 v161, v[12:15] offset:1088
	;; [unrolled: 1-line block ×13, first 2 shown]
	s_waitcnt lgkmcnt(0)
	s_barrier
	buffer_gl0_inv
	ds_load_b128 v[0:3], v161 offset:3808
	ds_load_b128 v[4:7], v161 offset:4352
	;; [unrolled: 1-line block ×8, first 2 shown]
	s_clause 0x1
	scratch_load_b128 v[64:67], off, off offset:208
	scratch_load_b128 v[60:63], off, off offset:192
	s_waitcnt vmcnt(1) lgkmcnt(7)
	v_mul_f64 v[32:33], v[66:67], v[2:3]
	v_mul_f64 v[34:35], v[66:67], v[0:1]
	scratch_load_b128 v[66:69], off, off offset:224 ; 16-byte Folded Reload
	s_waitcnt vmcnt(1) lgkmcnt(6)
	v_mul_f64 v[36:37], v[62:63], v[6:7]
	v_mul_f64 v[38:39], v[62:63], v[4:5]
	v_fma_f64 v[32:33], v[64:65], v[0:1], v[32:33]
	v_fma_f64 v[34:35], v[64:65], v[2:3], -v[34:35]
	s_delay_alu instid0(VALU_DEP_4) | instskip(NEXT) | instid1(VALU_DEP_4)
	v_fma_f64 v[36:37], v[60:61], v[4:5], v[36:37]
	v_fma_f64 v[38:39], v[60:61], v[6:7], -v[38:39]
	s_waitcnt vmcnt(0) lgkmcnt(5)
	v_mul_f64 v[40:41], v[68:69], v[10:11]
	v_mul_f64 v[42:43], v[68:69], v[8:9]
	scratch_load_b128 v[68:71], off, off offset:240 ; 16-byte Folded Reload
	v_fma_f64 v[40:41], v[66:67], v[8:9], v[40:41]
	v_fma_f64 v[42:43], v[66:67], v[10:11], -v[42:43]
	s_waitcnt vmcnt(0) lgkmcnt(4)
	v_mul_f64 v[44:45], v[70:71], v[14:15]
	v_mul_f64 v[46:47], v[70:71], v[12:13]
	scratch_load_b128 v[70:73], off, off offset:256 ; 16-byte Folded Reload
	;; [unrolled: 6-line block ×4, first 2 shown]
	v_fma_f64 v[52:53], v[72:73], v[20:21], v[52:53]
	v_fma_f64 v[54:55], v[72:73], v[22:23], -v[54:55]
	ds_load_b128 v[0:3], v161
	ds_load_b128 v[4:7], v161 offset:544
	ds_load_b128 v[8:11], v161 offset:1088
	;; [unrolled: 1-line block ×5, first 2 shown]
	s_waitcnt vmcnt(0) lgkmcnt(7)
	v_mul_f64 v[56:57], v[76:77], v[26:27]
	v_mul_f64 v[58:59], v[76:77], v[24:25]
	s_delay_alu instid0(VALU_DEP_2) | instskip(NEXT) | instid1(VALU_DEP_2)
	v_fma_f64 v[56:57], v[74:75], v[24:25], v[56:57]
	v_fma_f64 v[58:59], v[74:75], v[26:27], -v[58:59]
	s_waitcnt lgkmcnt(5)
	v_add_f64 v[24:25], v[0:1], -v[32:33]
	v_add_f64 v[26:27], v[2:3], -v[34:35]
	s_waitcnt lgkmcnt(4)
	v_add_f64 v[32:33], v[4:5], -v[36:37]
	v_add_f64 v[34:35], v[6:7], -v[38:39]
	;; [unrolled: 3-line block ×6, first 2 shown]
	v_add_f64 v[52:53], v[28:29], -v[56:57]
	v_add_f64 v[54:55], v[30:31], -v[58:59]
	v_fma_f64 v[0:1], v[0:1], 2.0, -v[24:25]
	v_fma_f64 v[2:3], v[2:3], 2.0, -v[26:27]
	;; [unrolled: 1-line block ×14, first 2 shown]
	ds_store_b128 v163, v[32:35] offset:4352
	ds_store_b128 v163, v[0:3]
	ds_store_b128 v163, v[4:7] offset:544
	ds_store_b128 v163, v[24:27] offset:3808
	;; [unrolled: 1-line block ×12, first 2 shown]
	s_waitcnt lgkmcnt(0)
	s_barrier
	buffer_gl0_inv
	s_and_b32 exec_lo, exec_lo, vcc_lo
	s_cbranch_execz .LBB0_15
; %bb.14:
	global_load_b128 v[3:6], v245, s[12:13]
	ds_load_b128 v[7:10], v163
	v_lshl_add_u32 v2, v243, 4, v148
	s_mov_b32 s0, 0x1135c811
	s_mov_b32 s1, 0x3f6135c8
	s_mul_i32 s2, s5, 0x1c0
	s_mul_i32 s3, s4, 0x1c0
	ds_load_b128 v[11:14], v2 offset:448
	s_waitcnt vmcnt(0) lgkmcnt(1)
	v_mul_f64 v[0:1], v[9:10], v[5:6]
	v_mul_f64 v[5:6], v[7:8], v[5:6]
	s_delay_alu instid0(VALU_DEP_2) | instskip(NEXT) | instid1(VALU_DEP_2)
	v_fma_f64 v[0:1], v[7:8], v[3:4], v[0:1]
	v_fma_f64 v[5:6], v[3:4], v[9:10], -v[5:6]
	v_mad_u64_u32 v[7:8], null, s6, v249, 0
	v_mad_u64_u32 v[9:10], null, s4, v246, 0
	s_mul_hi_u32 s6, s4, 0x1c0
	s_delay_alu instid0(SALU_CYCLE_1) | instskip(NEXT) | instid1(VALU_DEP_4)
	s_add_i32 s2, s6, s2
	v_mul_f64 v[3:4], v[0:1], s[0:1]
	s_delay_alu instid0(VALU_DEP_4) | instskip(NEXT) | instid1(VALU_DEP_3)
	v_mul_f64 v[5:6], v[5:6], s[0:1]
	v_dual_mov_b32 v0, v8 :: v_dual_mov_b32 v1, v10
	s_delay_alu instid0(VALU_DEP_1) | instskip(SKIP_1) | instid1(VALU_DEP_2)
	v_mad_u64_u32 v[15:16], null, s7, v249, v[0:1]
	v_mad_u64_u32 v[16:17], null, s5, v246, v[1:2]
	v_mov_b32_e32 v8, v15
	s_delay_alu instid0(VALU_DEP_2) | instskip(NEXT) | instid1(VALU_DEP_2)
	v_mov_b32_e32 v10, v16
	v_lshlrev_b64 v[0:1], 4, v[7:8]
	s_delay_alu instid0(VALU_DEP_2) | instskip(NEXT) | instid1(VALU_DEP_2)
	v_lshlrev_b64 v[7:8], 4, v[9:10]
	v_add_co_u32 v0, vcc_lo, s14, v0
	s_delay_alu instid0(VALU_DEP_3) | instskip(NEXT) | instid1(VALU_DEP_2)
	v_add_co_ci_u32_e32 v1, vcc_lo, s15, v1, vcc_lo
	v_add_co_u32 v7, vcc_lo, v0, v7
	s_delay_alu instid0(VALU_DEP_2) | instskip(NEXT) | instid1(VALU_DEP_2)
	v_add_co_ci_u32_e32 v8, vcc_lo, v1, v8, vcc_lo
	v_add_co_u32 v15, vcc_lo, v7, s3
	global_store_b128 v[7:8], v[3:6], off
	global_load_b128 v[3:6], v245, s[12:13] offset:448
	v_add_co_ci_u32_e32 v16, vcc_lo, s2, v8, vcc_lo
	s_waitcnt vmcnt(0) lgkmcnt(0)
	v_mul_f64 v[9:10], v[13:14], v[5:6]
	v_mul_f64 v[5:6], v[11:12], v[5:6]
	s_delay_alu instid0(VALU_DEP_2) | instskip(NEXT) | instid1(VALU_DEP_2)
	v_fma_f64 v[9:10], v[11:12], v[3:4], v[9:10]
	v_fma_f64 v[5:6], v[3:4], v[13:14], -v[5:6]
	s_delay_alu instid0(VALU_DEP_2) | instskip(NEXT) | instid1(VALU_DEP_2)
	v_mul_f64 v[3:4], v[9:10], s[0:1]
	v_mul_f64 v[5:6], v[5:6], s[0:1]
	global_store_b128 v[15:16], v[3:6], off
	global_load_b128 v[3:6], v245, s[12:13] offset:896
	ds_load_b128 v[7:10], v2 offset:896
	ds_load_b128 v[11:14], v2 offset:1344
	s_waitcnt vmcnt(0) lgkmcnt(1)
	v_mul_f64 v[17:18], v[9:10], v[5:6]
	v_mul_f64 v[5:6], v[7:8], v[5:6]
	s_delay_alu instid0(VALU_DEP_2) | instskip(NEXT) | instid1(VALU_DEP_2)
	v_fma_f64 v[7:8], v[7:8], v[3:4], v[17:18]
	v_fma_f64 v[5:6], v[3:4], v[9:10], -v[5:6]
	s_delay_alu instid0(VALU_DEP_2) | instskip(NEXT) | instid1(VALU_DEP_2)
	v_mul_f64 v[3:4], v[7:8], s[0:1]
	v_mul_f64 v[5:6], v[5:6], s[0:1]
	v_add_co_u32 v7, vcc_lo, v15, s3
	v_add_co_ci_u32_e32 v8, vcc_lo, s2, v16, vcc_lo
	s_delay_alu instid0(VALU_DEP_2) | instskip(NEXT) | instid1(VALU_DEP_2)
	v_add_co_u32 v15, vcc_lo, v7, s3
	v_add_co_ci_u32_e32 v16, vcc_lo, s2, v8, vcc_lo
	global_store_b128 v[7:8], v[3:6], off
	global_load_b128 v[3:6], v245, s[12:13] offset:1344
	s_waitcnt vmcnt(0) lgkmcnt(0)
	v_mul_f64 v[9:10], v[13:14], v[5:6]
	v_mul_f64 v[5:6], v[11:12], v[5:6]
	s_delay_alu instid0(VALU_DEP_2) | instskip(NEXT) | instid1(VALU_DEP_2)
	v_fma_f64 v[9:10], v[11:12], v[3:4], v[9:10]
	v_fma_f64 v[5:6], v[3:4], v[13:14], -v[5:6]
	s_delay_alu instid0(VALU_DEP_2) | instskip(NEXT) | instid1(VALU_DEP_2)
	v_mul_f64 v[3:4], v[9:10], s[0:1]
	v_mul_f64 v[5:6], v[5:6], s[0:1]
	global_store_b128 v[15:16], v[3:6], off
	global_load_b128 v[3:6], v245, s[12:13] offset:1792
	ds_load_b128 v[7:10], v2 offset:1792
	ds_load_b128 v[11:14], v2 offset:2240
	s_waitcnt vmcnt(0) lgkmcnt(1)
	v_mul_f64 v[17:18], v[9:10], v[5:6]
	v_mul_f64 v[5:6], v[7:8], v[5:6]
	s_delay_alu instid0(VALU_DEP_2) | instskip(NEXT) | instid1(VALU_DEP_2)
	v_fma_f64 v[7:8], v[7:8], v[3:4], v[17:18]
	v_fma_f64 v[5:6], v[3:4], v[9:10], -v[5:6]
	s_delay_alu instid0(VALU_DEP_2) | instskip(NEXT) | instid1(VALU_DEP_2)
	v_mul_f64 v[3:4], v[7:8], s[0:1]
	v_mul_f64 v[5:6], v[5:6], s[0:1]
	v_add_co_u32 v7, vcc_lo, v15, s3
	v_add_co_ci_u32_e32 v8, vcc_lo, s2, v16, vcc_lo
	s_delay_alu instid0(VALU_DEP_2) | instskip(NEXT) | instid1(VALU_DEP_2)
	v_add_co_u32 v15, vcc_lo, v7, s3
	v_add_co_ci_u32_e32 v16, vcc_lo, s2, v8, vcc_lo
	global_store_b128 v[7:8], v[3:6], off
	global_load_b128 v[3:6], v245, s[12:13] offset:2240
	;; [unrolled: 29-line block ×3, first 2 shown]
	s_waitcnt vmcnt(0) lgkmcnt(0)
	v_mul_f64 v[9:10], v[13:14], v[5:6]
	v_mul_f64 v[5:6], v[11:12], v[5:6]
	s_delay_alu instid0(VALU_DEP_2) | instskip(NEXT) | instid1(VALU_DEP_2)
	v_fma_f64 v[9:10], v[11:12], v[3:4], v[9:10]
	v_fma_f64 v[5:6], v[3:4], v[13:14], -v[5:6]
	s_delay_alu instid0(VALU_DEP_2) | instskip(NEXT) | instid1(VALU_DEP_2)
	v_mul_f64 v[3:4], v[9:10], s[0:1]
	v_mul_f64 v[5:6], v[5:6], s[0:1]
	global_store_b128 v[15:16], v[3:6], off
	global_load_b128 v[3:6], v245, s[12:13] offset:3584
	ds_load_b128 v[7:10], v2 offset:3584
	ds_load_b128 v[11:14], v2 offset:4032
	s_waitcnt vmcnt(0) lgkmcnt(1)
	v_mul_f64 v[17:18], v[9:10], v[5:6]
	v_mul_f64 v[5:6], v[7:8], v[5:6]
	s_delay_alu instid0(VALU_DEP_2) | instskip(NEXT) | instid1(VALU_DEP_2)
	v_fma_f64 v[7:8], v[7:8], v[3:4], v[17:18]
	v_fma_f64 v[5:6], v[3:4], v[9:10], -v[5:6]
	v_mad_u64_u32 v[9:10], null, s4, v242, 0
	s_delay_alu instid0(VALU_DEP_3) | instskip(NEXT) | instid1(VALU_DEP_3)
	v_mul_f64 v[3:4], v[7:8], s[0:1]
	v_mul_f64 v[5:6], v[5:6], s[0:1]
	s_delay_alu instid0(VALU_DEP_3) | instskip(NEXT) | instid1(VALU_DEP_1)
	v_mov_b32_e32 v7, v10
	v_mad_u64_u32 v[17:18], null, s5, v242, v[7:8]
	s_delay_alu instid0(VALU_DEP_1) | instskip(SKIP_1) | instid1(VALU_DEP_2)
	v_mov_b32_e32 v10, v17
	v_mad_u64_u32 v[17:18], null, 0x380, s4, v[15:16]
	v_lshlrev_b64 v[7:8], 4, v[9:10]
	s_delay_alu instid0(VALU_DEP_1) | instskip(NEXT) | instid1(VALU_DEP_2)
	v_add_co_u32 v7, vcc_lo, v0, v7
	v_add_co_ci_u32_e32 v8, vcc_lo, v1, v8, vcc_lo
	global_store_b128 v[7:8], v[3:6], off
	global_load_b128 v[3:6], v245, s[12:13] offset:4032
	s_waitcnt vmcnt(0) lgkmcnt(0)
	v_mul_f64 v[7:8], v[13:14], v[5:6]
	v_mul_f64 v[5:6], v[11:12], v[5:6]
	s_delay_alu instid0(VALU_DEP_2) | instskip(NEXT) | instid1(VALU_DEP_2)
	v_fma_f64 v[7:8], v[11:12], v[3:4], v[7:8]
	v_fma_f64 v[5:6], v[3:4], v[13:14], -v[5:6]
	s_delay_alu instid0(VALU_DEP_2) | instskip(NEXT) | instid1(VALU_DEP_2)
	v_mul_f64 v[3:4], v[7:8], s[0:1]
	v_mul_f64 v[5:6], v[5:6], s[0:1]
	v_mov_b32_e32 v7, v18
	s_delay_alu instid0(VALU_DEP_1) | instskip(SKIP_1) | instid1(VALU_DEP_1)
	v_mad_u64_u32 v[8:9], null, 0x380, s5, v[7:8]
	v_add_co_u32 v7, s6, s12, v245
	v_add_co_ci_u32_e64 v9, null, s13, 0, s6
	s_delay_alu instid0(VALU_DEP_2) | instskip(NEXT) | instid1(VALU_DEP_4)
	v_add_co_u32 v15, vcc_lo, 0x1000, v7
	v_mov_b32_e32 v18, v8
	s_delay_alu instid0(VALU_DEP_3)
	v_add_co_ci_u32_e32 v16, vcc_lo, 0, v9, vcc_lo
	global_store_b128 v[17:18], v[3:6], off
	global_load_b128 v[3:6], v[15:16], off offset:384
	ds_load_b128 v[7:10], v2 offset:4480
	ds_load_b128 v[11:14], v2 offset:4928
	s_waitcnt vmcnt(0) lgkmcnt(1)
	v_mul_f64 v[19:20], v[9:10], v[5:6]
	v_mul_f64 v[5:6], v[7:8], v[5:6]
	s_delay_alu instid0(VALU_DEP_2) | instskip(NEXT) | instid1(VALU_DEP_2)
	v_fma_f64 v[7:8], v[7:8], v[3:4], v[19:20]
	v_fma_f64 v[5:6], v[3:4], v[9:10], -v[5:6]
	s_delay_alu instid0(VALU_DEP_2) | instskip(NEXT) | instid1(VALU_DEP_2)
	v_mul_f64 v[3:4], v[7:8], s[0:1]
	v_mul_f64 v[5:6], v[5:6], s[0:1]
	v_add_co_u32 v7, vcc_lo, v17, s3
	v_add_co_ci_u32_e32 v8, vcc_lo, s2, v18, vcc_lo
	s_delay_alu instid0(VALU_DEP_2) | instskip(NEXT) | instid1(VALU_DEP_2)
	v_add_co_u32 v17, vcc_lo, v7, s3
	v_add_co_ci_u32_e32 v18, vcc_lo, s2, v8, vcc_lo
	global_store_b128 v[7:8], v[3:6], off
	global_load_b128 v[3:6], v[15:16], off offset:832
	s_waitcnt vmcnt(0) lgkmcnt(0)
	v_mul_f64 v[9:10], v[13:14], v[5:6]
	v_mul_f64 v[5:6], v[11:12], v[5:6]
	s_delay_alu instid0(VALU_DEP_2) | instskip(NEXT) | instid1(VALU_DEP_2)
	v_fma_f64 v[9:10], v[11:12], v[3:4], v[9:10]
	v_fma_f64 v[5:6], v[3:4], v[13:14], -v[5:6]
	s_delay_alu instid0(VALU_DEP_2) | instskip(NEXT) | instid1(VALU_DEP_2)
	v_mul_f64 v[3:4], v[9:10], s[0:1]
	v_mul_f64 v[5:6], v[5:6], s[0:1]
	global_store_b128 v[17:18], v[3:6], off
	global_load_b128 v[3:6], v[15:16], off offset:1280
	ds_load_b128 v[7:10], v2 offset:5376
	ds_load_b128 v[11:14], v2 offset:5824
	s_waitcnt vmcnt(0) lgkmcnt(1)
	v_mul_f64 v[19:20], v[9:10], v[5:6]
	v_mul_f64 v[5:6], v[7:8], v[5:6]
	s_delay_alu instid0(VALU_DEP_2) | instskip(NEXT) | instid1(VALU_DEP_2)
	v_fma_f64 v[7:8], v[7:8], v[3:4], v[19:20]
	v_fma_f64 v[5:6], v[3:4], v[9:10], -v[5:6]
	s_delay_alu instid0(VALU_DEP_2) | instskip(NEXT) | instid1(VALU_DEP_2)
	v_mul_f64 v[3:4], v[7:8], s[0:1]
	v_mul_f64 v[5:6], v[5:6], s[0:1]
	v_add_co_u32 v7, vcc_lo, v17, s3
	v_add_co_ci_u32_e32 v8, vcc_lo, s2, v18, vcc_lo
	s_delay_alu instid0(VALU_DEP_2) | instskip(NEXT) | instid1(VALU_DEP_2)
	v_add_co_u32 v17, vcc_lo, v7, s3
	v_add_co_ci_u32_e32 v18, vcc_lo, s2, v8, vcc_lo
	global_store_b128 v[7:8], v[3:6], off
	global_load_b128 v[3:6], v[15:16], off offset:1728
	s_waitcnt vmcnt(0) lgkmcnt(0)
	v_mul_f64 v[9:10], v[13:14], v[5:6]
	v_mul_f64 v[5:6], v[11:12], v[5:6]
	s_delay_alu instid0(VALU_DEP_2) | instskip(NEXT) | instid1(VALU_DEP_2)
	v_fma_f64 v[9:10], v[11:12], v[3:4], v[9:10]
	v_fma_f64 v[5:6], v[3:4], v[13:14], -v[5:6]
	s_delay_alu instid0(VALU_DEP_2) | instskip(NEXT) | instid1(VALU_DEP_2)
	v_mul_f64 v[3:4], v[9:10], s[0:1]
	v_mul_f64 v[5:6], v[5:6], s[0:1]
	global_store_b128 v[17:18], v[3:6], off
	global_load_b128 v[3:6], v[15:16], off offset:2176
	ds_load_b128 v[7:10], v2 offset:6272
	ds_load_b128 v[11:14], v2 offset:6720
	s_waitcnt vmcnt(0) lgkmcnt(1)
	v_mul_f64 v[19:20], v[9:10], v[5:6]
	v_mul_f64 v[5:6], v[7:8], v[5:6]
	s_delay_alu instid0(VALU_DEP_2) | instskip(NEXT) | instid1(VALU_DEP_2)
	v_fma_f64 v[7:8], v[7:8], v[3:4], v[19:20]
	v_fma_f64 v[5:6], v[3:4], v[9:10], -v[5:6]
	s_delay_alu instid0(VALU_DEP_2) | instskip(NEXT) | instid1(VALU_DEP_2)
	v_mul_f64 v[3:4], v[7:8], s[0:1]
	v_mul_f64 v[5:6], v[5:6], s[0:1]
	v_add_co_u32 v7, vcc_lo, v17, s3
	v_add_co_ci_u32_e32 v8, vcc_lo, s2, v18, vcc_lo
	global_store_b128 v[7:8], v[3:6], off
	global_load_b128 v[3:6], v[15:16], off offset:2624
	v_add_co_u32 v7, vcc_lo, v7, s3
	v_add_co_ci_u32_e32 v8, vcc_lo, s2, v8, vcc_lo
	s_waitcnt vmcnt(0) lgkmcnt(0)
	v_mul_f64 v[9:10], v[13:14], v[5:6]
	v_mul_f64 v[5:6], v[11:12], v[5:6]
	s_delay_alu instid0(VALU_DEP_2) | instskip(NEXT) | instid1(VALU_DEP_2)
	v_fma_f64 v[9:10], v[11:12], v[3:4], v[9:10]
	v_fma_f64 v[5:6], v[3:4], v[13:14], -v[5:6]
	s_delay_alu instid0(VALU_DEP_2) | instskip(SKIP_1) | instid1(VALU_DEP_3)
	v_mul_f64 v[3:4], v[9:10], s[0:1]
	v_lshlrev_b32_e32 v9, 4, v241
	v_mul_f64 v[5:6], v[5:6], s[0:1]
	global_store_b128 v[7:8], v[3:6], off
	global_load_b128 v[3:6], v9, s[12:13]
	ds_load_b128 v[7:10], v2 offset:7168
	s_waitcnt vmcnt(0) lgkmcnt(0)
	v_mul_f64 v[11:12], v[9:10], v[5:6]
	v_mul_f64 v[5:6], v[7:8], v[5:6]
	s_delay_alu instid0(VALU_DEP_2) | instskip(NEXT) | instid1(VALU_DEP_2)
	v_fma_f64 v[7:8], v[7:8], v[3:4], v[11:12]
	v_fma_f64 v[4:5], v[3:4], v[9:10], -v[5:6]
	v_mad_u64_u32 v[9:10], null, s4, v241, 0
	s_delay_alu instid0(VALU_DEP_1) | instskip(NEXT) | instid1(VALU_DEP_4)
	v_mov_b32_e32 v6, v10
	v_mul_f64 v[2:3], v[7:8], s[0:1]
	s_delay_alu instid0(VALU_DEP_4) | instskip(NEXT) | instid1(VALU_DEP_3)
	v_mul_f64 v[4:5], v[4:5], s[0:1]
	v_mad_u64_u32 v[7:8], null, s5, v241, v[6:7]
	s_delay_alu instid0(VALU_DEP_1) | instskip(NEXT) | instid1(VALU_DEP_1)
	v_mov_b32_e32 v10, v7
	v_lshlrev_b64 v[6:7], 4, v[9:10]
	s_delay_alu instid0(VALU_DEP_1) | instskip(NEXT) | instid1(VALU_DEP_2)
	v_add_co_u32 v0, vcc_lo, v0, v6
	v_add_co_ci_u32_e32 v1, vcc_lo, v1, v7, vcc_lo
	global_store_b128 v[0:1], v[2:5], off
.LBB0_15:
	s_nop 0
	s_sendmsg sendmsg(MSG_DEALLOC_VGPRS)
	s_endpgm
	.section	.rodata,"a",@progbits
	.p2align	6, 0x0
	.amdhsa_kernel bluestein_single_fwd_len476_dim1_dp_op_CI_CI
		.amdhsa_group_segment_fixed_size 22848
		.amdhsa_private_segment_fixed_size 476
		.amdhsa_kernarg_size 104
		.amdhsa_user_sgpr_count 15
		.amdhsa_user_sgpr_dispatch_ptr 0
		.amdhsa_user_sgpr_queue_ptr 0
		.amdhsa_user_sgpr_kernarg_segment_ptr 1
		.amdhsa_user_sgpr_dispatch_id 0
		.amdhsa_user_sgpr_private_segment_size 0
		.amdhsa_wavefront_size32 1
		.amdhsa_uses_dynamic_stack 0
		.amdhsa_enable_private_segment 1
		.amdhsa_system_sgpr_workgroup_id_x 1
		.amdhsa_system_sgpr_workgroup_id_y 0
		.amdhsa_system_sgpr_workgroup_id_z 0
		.amdhsa_system_sgpr_workgroup_info 0
		.amdhsa_system_vgpr_workitem_id 0
		.amdhsa_next_free_vgpr 256
		.amdhsa_next_free_sgpr 58
		.amdhsa_reserve_vcc 1
		.amdhsa_float_round_mode_32 0
		.amdhsa_float_round_mode_16_64 0
		.amdhsa_float_denorm_mode_32 3
		.amdhsa_float_denorm_mode_16_64 3
		.amdhsa_dx10_clamp 1
		.amdhsa_ieee_mode 1
		.amdhsa_fp16_overflow 0
		.amdhsa_workgroup_processor_mode 1
		.amdhsa_memory_ordered 1
		.amdhsa_forward_progress 0
		.amdhsa_shared_vgpr_count 0
		.amdhsa_exception_fp_ieee_invalid_op 0
		.amdhsa_exception_fp_denorm_src 0
		.amdhsa_exception_fp_ieee_div_zero 0
		.amdhsa_exception_fp_ieee_overflow 0
		.amdhsa_exception_fp_ieee_underflow 0
		.amdhsa_exception_fp_ieee_inexact 0
		.amdhsa_exception_int_div_zero 0
	.end_amdhsa_kernel
	.text
.Lfunc_end0:
	.size	bluestein_single_fwd_len476_dim1_dp_op_CI_CI, .Lfunc_end0-bluestein_single_fwd_len476_dim1_dp_op_CI_CI
                                        ; -- End function
	.section	.AMDGPU.csdata,"",@progbits
; Kernel info:
; codeLenInByte = 28160
; NumSgprs: 60
; NumVgprs: 256
; ScratchSize: 476
; MemoryBound: 0
; FloatMode: 240
; IeeeMode: 1
; LDSByteSize: 22848 bytes/workgroup (compile time only)
; SGPRBlocks: 7
; VGPRBlocks: 31
; NumSGPRsForWavesPerEU: 60
; NumVGPRsForWavesPerEU: 256
; Occupancy: 5
; WaveLimiterHint : 1
; COMPUTE_PGM_RSRC2:SCRATCH_EN: 1
; COMPUTE_PGM_RSRC2:USER_SGPR: 15
; COMPUTE_PGM_RSRC2:TRAP_HANDLER: 0
; COMPUTE_PGM_RSRC2:TGID_X_EN: 1
; COMPUTE_PGM_RSRC2:TGID_Y_EN: 0
; COMPUTE_PGM_RSRC2:TGID_Z_EN: 0
; COMPUTE_PGM_RSRC2:TIDIG_COMP_CNT: 0
	.text
	.p2alignl 7, 3214868480
	.fill 96, 4, 3214868480
	.type	__hip_cuid_faab0fe4c2a7a54b,@object ; @__hip_cuid_faab0fe4c2a7a54b
	.section	.bss,"aw",@nobits
	.globl	__hip_cuid_faab0fe4c2a7a54b
__hip_cuid_faab0fe4c2a7a54b:
	.byte	0                               ; 0x0
	.size	__hip_cuid_faab0fe4c2a7a54b, 1

	.ident	"AMD clang version 19.0.0git (https://github.com/RadeonOpenCompute/llvm-project roc-6.4.0 25133 c7fe45cf4b819c5991fe208aaa96edf142730f1d)"
	.section	".note.GNU-stack","",@progbits
	.addrsig
	.addrsig_sym __hip_cuid_faab0fe4c2a7a54b
	.amdgpu_metadata
---
amdhsa.kernels:
  - .args:
      - .actual_access:  read_only
        .address_space:  global
        .offset:         0
        .size:           8
        .value_kind:     global_buffer
      - .actual_access:  read_only
        .address_space:  global
        .offset:         8
        .size:           8
        .value_kind:     global_buffer
      - .actual_access:  read_only
        .address_space:  global
        .offset:         16
        .size:           8
        .value_kind:     global_buffer
      - .actual_access:  read_only
        .address_space:  global
        .offset:         24
        .size:           8
        .value_kind:     global_buffer
      - .actual_access:  read_only
        .address_space:  global
        .offset:         32
        .size:           8
        .value_kind:     global_buffer
      - .offset:         40
        .size:           8
        .value_kind:     by_value
      - .address_space:  global
        .offset:         48
        .size:           8
        .value_kind:     global_buffer
      - .address_space:  global
        .offset:         56
        .size:           8
        .value_kind:     global_buffer
      - .address_space:  global
        .offset:         64
        .size:           8
        .value_kind:     global_buffer
      - .address_space:  global
        .offset:         72
        .size:           8
        .value_kind:     global_buffer
      - .offset:         80
        .size:           4
        .value_kind:     by_value
      - .address_space:  global
        .offset:         88
        .size:           8
        .value_kind:     global_buffer
      - .address_space:  global
        .offset:         96
        .size:           8
        .value_kind:     global_buffer
    .group_segment_fixed_size: 22848
    .kernarg_segment_align: 8
    .kernarg_segment_size: 104
    .language:       OpenCL C
    .language_version:
      - 2
      - 0
    .max_flat_workgroup_size: 102
    .name:           bluestein_single_fwd_len476_dim1_dp_op_CI_CI
    .private_segment_fixed_size: 476
    .sgpr_count:     60
    .sgpr_spill_count: 0
    .symbol:         bluestein_single_fwd_len476_dim1_dp_op_CI_CI.kd
    .uniform_work_group_size: 1
    .uses_dynamic_stack: false
    .vgpr_count:     256
    .vgpr_spill_count: 118
    .wavefront_size: 32
    .workgroup_processor_mode: 1
amdhsa.target:   amdgcn-amd-amdhsa--gfx1100
amdhsa.version:
  - 1
  - 2
...

	.end_amdgpu_metadata
